;; amdgpu-corpus repo=ROCm/aiter kind=harvested arch=n/a opt=n/a

/root/src/amdgpu-assembly/repos/ROCm__aiter/hsa/gfx950/fmoe_2stages/fmoe_stage1_bf16_pertokenFp8_g1u1_80x64_2tg_pf2.co:	file format elf64-amdgpu

Disassembly of section .text:

0000000000002a00 <_ZN5aiter47fmoe_stage1_bf16_pertokenFp8_g1u1_80x64_2tg_pf2E>:
	s_and_b32 s1, s1, 0xffff                                   // 000000002A00: 8601FF01 0000FFFF
	s_load_dwordx2 s[8:9], s[0:1], 0x0                         // 000000002A08: C0060200 00000000
	s_load_dwordx2 s[20:21], s[0:1], 0x10                      // 000000002A10: C0060500 00000010
	s_load_dwordx2 s[24:25], s[0:1], 0x20                      // 000000002A18: C0060600 00000020
	s_load_dwordx2 s[48:49], s[0:1], 0x30                      // 000000002A20: C0060C00 00000030
	s_load_dwordx2 s[28:29], s[0:1], 0x40                      // 000000002A28: C0060700 00000040
	s_load_dwordx2 s[32:33], s[0:1], 0x50                      // 000000002A30: C0060800 00000050
	s_load_dwordx2 s[36:37], s[0:1], 0x60                      // 000000002A38: C0060900 00000060
	s_load_dwordx2 s[12:13], s[0:1], 0x70                      // 000000002A40: C0060300 00000070
	s_load_dwordx2 s[44:45], s[0:1], 0x80                      // 000000002A48: C0060B00 00000080
	s_mov_b32 s89, 0                                           // 000000002A50: BED90080
	s_load_dword s64, s[0:1], 0x90                             // 000000002A54: C0021000 00000090
	s_load_dword s65, s[0:1], 0xa0                             // 000000002A5C: C0021040 000000A0
	s_load_dword s66, s[0:1], 0xb0                             // 000000002A64: C0021080 000000B0
	s_load_dword s67, s[0:1], 0xc0                             // 000000002A6C: C00210C0 000000C0
	s_load_dword s68, s[0:1], 0xd0                             // 000000002A74: C0021100 000000D0
	s_load_dword s69, s[0:1], 0xe0                             // 000000002A7C: C0021140 000000E0
	s_load_dword s71, s[0:1], 0xf0                             // 000000002A84: C00211C0 000000F0
	s_load_dword s72, s[0:1], 0x100                            // 000000002A8C: C0021200 00000100
	s_load_dword s74, s[0:1], 0x110                            // 000000002A94: C0021280 00000110
	s_load_dword s76, s[0:1], 0x120                            // 000000002A9C: C0021300 00000120
	s_load_dword s56, s[0:1], 0x130                            // 000000002AA4: C0020E00 00000130
	s_load_dword s88, s[0:1], 0x140                            // 000000002AAC: C0021600 00000140
	s_load_dword s89, s[0:1], 0x150                            // 000000002AB4: C0021640 00000150
	v_lshrrev_b32_e32 v1, 10, v0                               // 000000002ABC: 2002008A
	v_lshrrev_b32_e32 v2, 10, v1                               // 000000002AC0: 2004028A
	v_and_b32_e32 v2, 0x3ff, v2                                // 000000002AC4: 260404FF 000003FF
	v_and_b32_e32 v1, 0x3ff, v1                                // 000000002ACC: 260202FF 000003FF
	v_and_b32_e32 v0, 0x3ff, v0                                // 000000002AD4: 260000FF 000003FF
	v_lshrrev_b32_e32 v3, 6, v0                                // 000000002ADC: 20060086
	v_and_b32_e32 v0, 63, v0                                   // 000000002AE0: 260000BF
	s_mov_b32 s2, s2                                           // 000000002AE4: BE820002
	s_mov_b32 s3, s3                                           // 000000002AE8: BE830003
	s_mov_b32 s4, s4                                           // 000000002AEC: BE840004
	v_readfirstlane_b32 s7, v3                                 // 000000002AF0: 7E0E0503
	s_waitcnt lgkmcnt(0)                                       // 000000002AF4: BF8CC07F
	s_and_b32 s49, s49, 0xffff                                 // 000000002AF8: 8631FF31 0000FFFF
	s_load_dword s48, s[48:49], 0x0                            // 000000002B00: C0020C18 00000000
	s_and_b32 s45, s45, 0xffff                                 // 000000002B08: 862DFF2D 0000FFFF
	s_and_b32 s9, s9, 0xffff                                   // 000000002B10: 8609FF09 0000FFFF
	s_mul_i32 s60, s66, s68                                    // 000000002B18: 923C4442
	s_mul_i32 s61, s66, 4                                      // 000000002B1C: 923D8442
	s_mov_b32 s22, s60                                         // 000000002B20: BE96003C
	s_mov_b32 s26, -16                                         // 000000002B24: BE9A00D0
	s_mov_b32 s30, s61                                         // 000000002B28: BE9E003D
	s_mov_b32 s14, 0x140                                       // 000000002B2C: BE8E00FF 00000140
	s_mov_b32 s38, -16                                         // 000000002B34: BEA600D0
	s_mov_b32 s10, -16                                         // 000000002B38: BE8A00D0
	s_mov_b32 s34, 0x100                                       // 000000002B3C: BEA200FF 00000100
	s_mov_b32 s23, 0x20000                                     // 000000002B44: BE9700FF 00020000
	s_mov_b32 s27, 0x20000                                     // 000000002B4C: BE9B00FF 00020000
	s_mov_b32 s31, 0x20000                                     // 000000002B54: BE9F00FF 00020000
	s_mov_b32 s35, 0x20000                                     // 000000002B5C: BEA300FF 00020000
	s_mov_b32 s15, 0x20000                                     // 000000002B64: BE8F00FF 00020000
	s_mov_b32 s39, 0x20000                                     // 000000002B6C: BEA700FF 00020000
	s_mov_b32 s11, 0x20000                                     // 000000002B74: BE8B00FF 00020000
	s_and_b32 s21, s21, 0xffff                                 // 000000002B7C: 8615FF15 0000FFFF
	s_and_b32 s25, s25, 0xffff                                 // 000000002B84: 8619FF19 0000FFFF
	s_and_b32 s29, s29, 0xffff                                 // 000000002B8C: 861DFF1D 0000FFFF
	s_and_b32 s33, s33, 0xffff                                 // 000000002B94: 8621FF21 0000FFFF
	s_and_b32 s13, s13, 0xffff                                 // 000000002B9C: 860DFF0D 0000FFFF
	s_and_b32 s37, s37, 0xffff                                 // 000000002BA4: 8625FF25 0000FFFF
	s_or_b32 s21, s21, 0x40000                                 // 000000002BAC: 8715FF15 00040000
	s_or_b32 s25, s25, 0x40000                                 // 000000002BB4: 8719FF19 00040000
	s_or_b32 s29, s29, 0x40000                                 // 000000002BBC: 871DFF1D 00040000
	s_or_b32 s33, s33, 0x40000                                 // 000000002BC4: 8721FF21 00040000
	s_or_b32 s13, s13, 0x40000                                 // 000000002BCC: 870DFF0D 00040000
	s_or_b32 s37, s37, 0x40000                                 // 000000002BD4: 8725FF25 00040000
	v_accvgpr_write_b32 a95, 0                                 // 000000002BDC: D3D9405F 18000080
	v_mov_b32_e32 v99, 0                                       // 000000002BE4: 7EC60280
	s_waitcnt lgkmcnt(0)                                       // 000000002BE8: BF8CC07F
	s_mul_i32 s60, s3, 0x50                                    // 000000002BEC: 923CFF03 00000050
	s_cmp_lt_i32 s60, s48                                      // 000000002BF4: BF04303C
	s_cbranch_scc0 label_1657                                  // 000000002BF8: BF8415D5
	s_mov_b32 s80, 0                                           // 000000002BFC: BED00080
	s_lshr_b32 s81, s64, s88                                   // 000000002C00: 8F515840
	s_mul_i32 s60, s3, 4                                       // 000000002C04: 923C8403
	s_add_u32 s44, s60, s44                                    // 000000002C08: 802C2C3C
	s_addc_u32 s45, 0, s45                                     // 000000002C0C: 822D2D80
	s_load_dword s5, s[44:45], 0x0                             // 000000002C10: C0020156 00000000
	s_mul_i32 s60, s3, 0x50                                    // 000000002C18: 923CFF03 00000050
	s_mul_i32 s60, 4, s60                                      // 000000002C20: 923C3C84
	s_add_u32 s12, s60, s12                                    // 000000002C24: 800C0C3C
	s_addc_u32 s13, 0, s13                                     // 000000002C28: 820D0D80
	v_and_b32_e32 v4, 15, v0                                   // 000000002C2C: 2608008F
	v_lshlrev_b32_e32 v4, 2, v4                                // 000000002C30: 24080882
	buffer_load_dword v28, v4, s[12:15], 0 offen               // 000000002C34: E0501000 80031C04
	v_add_u32_e32 v4, 64, v4                                   // 000000002C3C: 680808C0
	buffer_load_dword v29, v4, s[12:15], 0 offen               // 000000002C40: E0501000 80031D04
	v_add_u32_e32 v4, 64, v4                                   // 000000002C48: 680808C0
	buffer_load_dword v30, v4, s[12:15], 0 offen               // 000000002C4C: E0501000 80031E04
	v_add_u32_e32 v4, 64, v4                                   // 000000002C54: 680808C0
	buffer_load_dword v31, v4, s[12:15], 0 offen               // 000000002C58: E0501000 80031F04
	v_add_u32_e32 v4, 64, v4                                   // 000000002C60: 680808C0
	buffer_load_dword v32, v4, s[12:15], 0 offen               // 000000002C64: E0501000 80032004
	v_add_u32_e32 v4, 64, v4                                   // 000000002C6C: 680808C0
	s_mul_i32 s60, 4, s7                                       // 000000002C70: 923C0784
	v_lshlrev_b32_e32 v4, 4, v0                                // 000000002C74: 24080084
	v_add_u32_e32 v4, s60, v4                                  // 000000002C78: 6808083C
	buffer_load_dword v3, v4, s[12:15], 0 offen                // 000000002C7C: E0501000 80030304
	v_mov_b32_e32 v60, 0                                       // 000000002C84: 7E780280
	v_mov_b32_e32 v80, 0                                       // 000000002C88: 7EA00280
	v_mov_b32_e32 v61, 0                                       // 000000002C8C: 7E7A0280
	v_mov_b32_e32 v81, 0                                       // 000000002C90: 7EA20280
	v_mov_b32_e32 v62, 0                                       // 000000002C94: 7E7C0280
	v_mov_b32_e32 v82, 0                                       // 000000002C98: 7EA40280
	v_mov_b32_e32 v63, 0                                       // 000000002C9C: 7E7E0280
	v_mov_b32_e32 v83, 0                                       // 000000002CA0: 7EA60280
	v_mov_b32_e32 v64, 0                                       // 000000002CA4: 7E800280
	v_mov_b32_e32 v84, 0                                       // 000000002CA8: 7EA80280
	v_mov_b32_e32 v65, 0                                       // 000000002CAC: 7E820280
	v_mov_b32_e32 v85, 0                                       // 000000002CB0: 7EAA0280
	v_mov_b32_e32 v66, 0                                       // 000000002CB4: 7E840280
	v_mov_b32_e32 v86, 0                                       // 000000002CB8: 7EAC0280
	v_mov_b32_e32 v67, 0                                       // 000000002CBC: 7E860280
	v_mov_b32_e32 v87, 0                                       // 000000002CC0: 7EAE0280
	v_mov_b32_e32 v68, 0                                       // 000000002CC4: 7E880280
	v_mov_b32_e32 v88, 0                                       // 000000002CC8: 7EB00280
	v_mov_b32_e32 v69, 0                                       // 000000002CCC: 7E8A0280
	v_mov_b32_e32 v89, 0                                       // 000000002CD0: 7EB20280
	v_mov_b32_e32 v70, 0                                       // 000000002CD4: 7E8C0280
	v_mov_b32_e32 v90, 0                                       // 000000002CD8: 7EB40280
	v_mov_b32_e32 v71, 0                                       // 000000002CDC: 7E8E0280
	v_mov_b32_e32 v91, 0                                       // 000000002CE0: 7EB60280
	v_mov_b32_e32 v72, 0                                       // 000000002CE4: 7E900280
	v_mov_b32_e32 v92, 0                                       // 000000002CE8: 7EB80280
	v_mov_b32_e32 v73, 0                                       // 000000002CEC: 7E920280
	v_mov_b32_e32 v93, 0                                       // 000000002CF0: 7EBA0280
	v_mov_b32_e32 v74, 0                                       // 000000002CF4: 7E940280
	v_mov_b32_e32 v94, 0                                       // 000000002CF8: 7EBC0280
	v_mov_b32_e32 v75, 0                                       // 000000002CFC: 7E960280
	v_mov_b32_e32 v95, 0                                       // 000000002D00: 7EBE0280
	v_mov_b32_e32 v76, 0                                       // 000000002D04: 7E980280
	v_mov_b32_e32 v96, 0                                       // 000000002D08: 7EC00280
	v_mov_b32_e32 v77, 0                                       // 000000002D0C: 7E9A0280
	v_mov_b32_e32 v97, 0                                       // 000000002D10: 7EC20280
	v_mov_b32_e32 v78, 0                                       // 000000002D14: 7E9C0280
	v_mov_b32_e32 v98, 0                                       // 000000002D18: 7EC40280
	v_mov_b32_e32 v79, 0                                       // 000000002D1C: 7E9E0280
	v_mov_b32_e32 v99, 0                                       // 000000002D20: 7EC60280
	s_mul_i32 s60, s2, 0x80                                    // 000000002D24: 923CFF02 00000080
	s_cmp_eq_u32 s88, 0                                        // 000000002D2C: BF068058
	s_cselect_b32 s61, 1, 2                                    // 000000002D30: 853D8281
	s_mul_i32 s60, s60, s61                                    // 000000002D34: 923C3D3C
	s_mov_b32 s90, s8                                          // 000000002D38: BEDA0008
	s_mov_b32 s91, s9                                          // 000000002D3C: BEDB0009
	s_add_u32 s8, s60, s8                                      // 000000002D40: 8008083C
	s_addc_u32 s9, 0, s9                                       // 000000002D44: 82090980
	v_lshrrev_b32_e32 v4, 4, v0                                // 000000002D48: 20080084
	v_mul_lo_u32 v20, 34, v4                                   // 000000002D4C: D2850014 000208A2
	v_and_b32_e32 v4, 15, v0                                   // 000000002D54: 2608008F
	v_mul_lo_u32 v5, 2, v4                                     // 000000002D58: D2850005 00020882
	v_add_u32_e32 v20, v5, v20                                 // 000000002D60: 68282905
	s_mul_i32 s60, s7, 0x88                                    // 000000002D64: 923CFF07 00000088
	v_add_u32_e32 v20, s60, v20                                // 000000002D6C: 6828283C
	v_lshlrev_b32_e32 v20, 2, v20                              // 000000002D70: 24282882
	v_and_b32_e32 v4, 31, v0                                   // 000000002D74: 2608009F
	v_lshrrev_b32_e32 v4, 1, v4                                // 000000002D78: 20080881
	v_mul_lo_u32 v21, 34, v4                                   // 000000002D7C: D2850015 000208A2
	v_lshrrev_b32_e32 v4, 5, v0                                // 000000002D84: 20080085
	v_mul_lo_u32 v4, 8, v4                                     // 000000002D88: D2850004 00020888
	v_add_u32_e32 v21, v21, v4                                 // 000000002D90: 682A0915
	v_and_b32_e32 v5, 1, v0                                    // 000000002D94: 260A0081
	v_add_u32_e32 v21, v5, v21                                 // 000000002D98: 682A2B05
	s_mul_i32 s60, s7, 2                                       // 000000002D9C: 923C8207
	v_add_u32_e32 v21, s60, v21                                // 000000002DA0: 682A2A3C
	v_lshlrev_b32_e32 v21, 2, v21                              // 000000002DA4: 242A2A82
	s_mul_i32 s60, s7, 0xa20                                   // 000000002DA8: 923CFF07 00000A20
	s_add_u32 s48, 0, s60                                      // 000000002DB0: 80303C80
	s_add_u32 s49, 0x2880, s48                                 // 000000002DB4: 803130FF 00002880
	v_lshrrev_b32_e32 v4, 4, v0                                // 000000002DBC: 20080084
	v_lshlrev_b32_e32 v5, 2, v4                                // 000000002DC0: 240A0882
	v_and_b32_e32 v4, 15, v0                                   // 000000002DC4: 2608008F
	v_lshrrev_b32_e32 v6, 2, v4                                // 000000002DC8: 200C0882
	v_lshlrev_b32_e32 v6, 5, v6                                // 000000002DCC: 240C0C85
	v_add_u32_e32 v5, v6, v5                                   // 000000002DD0: 680A0B06
	v_and_b32_e32 v4, 3, v0                                    // 000000002DD4: 26080083
	v_mul_u32_u24_e32 v6, 0x288, v4                            // 000000002DD8: 100C08FF 00000288
	v_add_u32_e32 v5, v6, v5                                   // 000000002DE0: 680A0B06
	v_lshlrev_b32_e32 v2, 2, v5                                // 000000002DE4: 24040A82
	s_waitcnt lgkmcnt(0)                                       // 000000002DE8: BF8CC07F
	s_mul_i32 s60, s2, 64                                      // 000000002DEC: 923CC002
	s_mul_i32 s60, s60, s69                                    // 000000002DF0: 923C453C
	s_mul_i32 s61, s5, s72                                     // 000000002DF4: 923D4805
	s_add_u32 s60, s61, s60                                    // 000000002DF8: 803C3C3D
	s_add_u32 s24, s60, s24                                    // 000000002DFC: 8018183C
	s_addc_u32 s25, 0, s25                                     // 000000002E00: 82191980
	s_lshr_b32 s60, s64, s88                                   // 000000002E04: 8F3C5840
	s_mul_i32 s60, s4, s60                                     // 000000002E08: 923C3C04
	s_lshr_b32 s60, s60, 7                                     // 000000002E0C: 8F3C873C
	s_mul_i32 s60, s60, 0x800                                  // 000000002E10: 923CFF3C 00000800
	s_add_u32 s24, s60, s24                                    // 000000002E18: 8018183C
	s_addc_u32 s25, 0, s25                                     // 000000002E1C: 82191980
	s_lshr_b32 s60, s69, s88                                   // 000000002E20: 8F3C5845
	s_mul_i32 s60, s4, s60                                     // 000000002E24: 923C3C04
	s_add_u32 s20, s60, s20                                    // 000000002E28: 8014143C
	s_addc_u32 s21, 0, s21                                     // 000000002E2C: 82151580
	s_mul_i32 s60, s7, 16                                      // 000000002E30: 923C9007
	s_mul_i32 s60, s60, s69                                    // 000000002E34: 923C453C
	v_lshlrev_b32_e32 v58, 4, v0                               // 000000002E38: 24740084
	v_add_u32_e32 v58, s60, v58                                // 000000002E3C: 6874743C
	s_mul_i32 s60, 64, s69                                     // 000000002E40: 923C45C0
	s_mov_b32 s84, s24                                         // 000000002E44: BED40018
	s_mov_b32 s85, s25                                         // 000000002E48: BED50019
	s_mov_b32 s86, s26                                         // 000000002E4C: BED6001A
	s_mov_b32 s87, s27                                         // 000000002E50: BED7001B
	s_mul_i32 s60, s69, s65                                    // 000000002E54: 923C4145
	s_add_u32 s84, s60, s84                                    // 000000002E58: 8054543C
	s_addc_u32 s85, 0, s85                                     // 000000002E5C: 82555580
	v_lshrrev_b32_e32 v4, 4, v0                                // 000000002E60: 20080084
	v_lshlrev_b32_e32 v5, 2, v4                                // 000000002E64: 240A0882
	v_and_b32_e32 v4, 15, v0                                   // 000000002E68: 2608008F
	v_lshrrev_b32_e32 v6, 2, v4                                // 000000002E6C: 200C0882
	v_lshlrev_b32_e32 v6, 6, v6                                // 000000002E70: 240C0C86
	v_add_u32_e32 v5, v6, v5                                   // 000000002E74: 680A0B06
	v_and_b32_e32 v4, 3, v0                                    // 000000002E78: 26080083
	v_add_u32_e32 v5, v4, v5                                   // 000000002E7C: 680A0B04
	v_lshlrev_b32_e32 v22, 2, v5                               // 000000002E80: 242C0A82
	s_mul_i32 s60, s7, 16                                      // 000000002E84: 923C9007
	s_mul_i32 s60, s60, 4                                      // 000000002E88: 923C843C
	v_add_u32_e32 v22, s60, v22                                // 000000002E8C: 682C2C3C
	s_mul_i32 s60, s2, 64                                      // 000000002E90: 923CC002
	s_mul_i32 s60, s60, 4                                      // 000000002E94: 923C843C
	s_mul_i32 s61, s5, s74                                     // 000000002E98: 923D4A05
	s_add_u32 s61, s61, s60                                    // 000000002E9C: 803D3C3D
	s_add_u32 s32, s61, s32                                    // 000000002EA0: 8020203D
	s_addc_u32 s33, 0, s33                                     // 000000002EA4: 82212180
	s_mov_b32 s57, 0x80                                        // 000000002EA8: BEB900FF 00000080
	s_mov_b32 s58, 0x800                                       // 000000002EB0: BEBA00FF 00000800
	s_mov_b32 s83, s58                                         // 000000002EB8: BED3003A
	s_mov_b32 s52, 0x7060302                                   // 000000002EBC: BEB400FF 07060302
	s_mov_b32 s53, 0x400                                       // 000000002EC4: BEB500FF 00000400
	s_mov_b32 s54, 0x40100                                     // 000000002ECC: BEB600FF 00040100
	s_mov_b32 s55, 0x4020100                                   // 000000002ED4: BEB700FF 04020100
	s_mov_b32 s6, 0x3fb8aa3b                                   // 000000002EDC: BE8600FF 3FB8AA3B
	s_mov_b32 s78, 0xbd92220c                                  // 000000002EE4: BECE00FF BD92220C
	s_mov_b32 s79, 0xbd92220c                                  // 000000002EEC: BECF00FF BD92220C
	s_mov_b32 m0, s48                                          // 000000002EF4: BEFC0030
	v_mov_b32_e32 v1, 0xbfcc4231                               // 000000002EF8: 7E0202FF BFCC4231
	v_mov_b32_e32 v17, 0xffff0000                              // 000000002F00: 7E2202FF FFFF0000
	v_mov_b32_e32 v18, 0x7fff0000                              // 000000002F08: 7E2402FF 7FFF0000
	v_mov_b32_e32 v19, 0x7fff                                  // 000000002F10: 7E2602FF 00007FFF
	s_waitcnt vmcnt(0) expcnt(0) lgkmcnt(0)                    // 000000002F18: BF8C0000
	v_lshrrev_b32_e32 v4, 5, v0                                // 000000002F1C: 20080085
	v_xor_b32_e32 v5, 1, v4                                    // 000000002F20: 2A0A0881
	v_readlane_b32 s82, v3, 0                                  // 000000002F24: D2890052 00010103
	s_and_b32 s82, s82, 0xffffff                               // 000000002F2C: 8652FF52 00FFFFFF
	v_mul_lo_u32 v6, v5, s82                                   // 000000002F34: D2850006 0000A505
	v_readlane_b32 s82, v3, 1                                  // 000000002F3C: D2890052 00010303
	s_and_b32 s82, s82, 0xffffff                               // 000000002F44: 8652FF52 00FFFFFF
	v_mul_lo_u32 v7, v4, s82                                   // 000000002F4C: D2850007 0000A504
	v_add_u32_e32 v48, v6, v7                                  // 000000002F54: 68600F06
	v_mul_lo_u32 v48, v48, s68                                 // 000000002F58: D2850030 00008930
	v_readlane_b32 s82, v3, 2                                  // 000000002F60: D2890052 00010503
	s_and_b32 s82, s82, 0xffffff                               // 000000002F68: 8652FF52 00FFFFFF
	v_mul_lo_u32 v6, v5, s82                                   // 000000002F70: D2850006 0000A505
	v_readlane_b32 s82, v3, 3                                  // 000000002F78: D2890052 00010703
	s_and_b32 s82, s82, 0xffffff                               // 000000002F80: 8652FF52 00FFFFFF
	v_mul_lo_u32 v7, v4, s82                                   // 000000002F88: D2850007 0000A504
	v_add_u32_e32 v49, v6, v7                                  // 000000002F90: 68620F06
	v_mul_lo_u32 v49, v49, s68                                 // 000000002F94: D2850031 00008931
	v_readlane_b32 s82, v3, 4                                  // 000000002F9C: D2890052 00010903
	s_and_b32 s82, s82, 0xffffff                               // 000000002FA4: 8652FF52 00FFFFFF
	v_mul_lo_u32 v6, v5, s82                                   // 000000002FAC: D2850006 0000A505
	v_readlane_b32 s82, v3, 5                                  // 000000002FB4: D2890052 00010B03
	s_and_b32 s82, s82, 0xffffff                               // 000000002FBC: 8652FF52 00FFFFFF
	v_mul_lo_u32 v7, v4, s82                                   // 000000002FC4: D2850007 0000A504
	v_add_u32_e32 v50, v6, v7                                  // 000000002FCC: 68640F06
	v_mul_lo_u32 v50, v50, s68                                 // 000000002FD0: D2850032 00008932
	v_readlane_b32 s82, v3, 6                                  // 000000002FD8: D2890052 00010D03
	s_and_b32 s82, s82, 0xffffff                               // 000000002FE0: 8652FF52 00FFFFFF
	v_mul_lo_u32 v6, v5, s82                                   // 000000002FE8: D2850006 0000A505
	v_readlane_b32 s82, v3, 7                                  // 000000002FF0: D2890052 00010F03
	s_and_b32 s82, s82, 0xffffff                               // 000000002FF8: 8652FF52 00FFFFFF
	v_mul_lo_u32 v7, v4, s82                                   // 000000003000: D2850007 0000A504
	v_add_u32_e32 v51, v6, v7                                  // 000000003008: 68660F06
	v_mul_lo_u32 v51, v51, s68                                 // 00000000300C: D2850033 00008933
	v_readlane_b32 s82, v3, 8                                  // 000000003014: D2890052 00011103
	s_and_b32 s82, s82, 0xffffff                               // 00000000301C: 8652FF52 00FFFFFF
	v_mul_lo_u32 v6, v5, s82                                   // 000000003024: D2850006 0000A505
	v_readlane_b32 s82, v3, 9                                  // 00000000302C: D2890052 00011303
	s_and_b32 s82, s82, 0xffffff                               // 000000003034: 8652FF52 00FFFFFF
	v_mul_lo_u32 v7, v4, s82                                   // 00000000303C: D2850007 0000A504
	v_add_u32_e32 v52, v6, v7                                  // 000000003044: 68680F06
	v_mul_lo_u32 v52, v52, s68                                 // 000000003048: D2850034 00008934
	v_readlane_b32 s82, v3, 10                                 // 000000003050: D2890052 00011503
	s_and_b32 s82, s82, 0xffffff                               // 000000003058: 8652FF52 00FFFFFF
	v_mul_lo_u32 v6, v5, s82                                   // 000000003060: D2850006 0000A505
	v_readlane_b32 s82, v3, 11                                 // 000000003068: D2890052 00011703
	s_and_b32 s82, s82, 0xffffff                               // 000000003070: 8652FF52 00FFFFFF
	v_mul_lo_u32 v7, v4, s82                                   // 000000003078: D2850007 0000A504
	v_add_u32_e32 v53, v6, v7                                  // 000000003080: 686A0F06
	v_mul_lo_u32 v53, v53, s68                                 // 000000003084: D2850035 00008935
	v_readlane_b32 s82, v3, 12                                 // 00000000308C: D2890052 00011903
	s_and_b32 s82, s82, 0xffffff                               // 000000003094: 8652FF52 00FFFFFF
	v_mul_lo_u32 v6, v5, s82                                   // 00000000309C: D2850006 0000A505
	v_readlane_b32 s82, v3, 13                                 // 0000000030A4: D2890052 00011B03
	s_and_b32 s82, s82, 0xffffff                               // 0000000030AC: 8652FF52 00FFFFFF
	v_mul_lo_u32 v7, v4, s82                                   // 0000000030B4: D2850007 0000A504
	v_add_u32_e32 v54, v6, v7                                  // 0000000030BC: 686C0F06
	v_mul_lo_u32 v54, v54, s68                                 // 0000000030C0: D2850036 00008936
	v_readlane_b32 s82, v3, 14                                 // 0000000030C8: D2890052 00011D03
	s_and_b32 s82, s82, 0xffffff                               // 0000000030D0: 8652FF52 00FFFFFF
	v_mul_lo_u32 v6, v5, s82                                   // 0000000030D8: D2850006 0000A505
	v_readlane_b32 s82, v3, 15                                 // 0000000030E0: D2890052 00011F03
	s_and_b32 s82, s82, 0xffffff                               // 0000000030E8: 8652FF52 00FFFFFF
	v_mul_lo_u32 v7, v4, s82                                   // 0000000030F0: D2850007 0000A504
	v_add_u32_e32 v55, v6, v7                                  // 0000000030F8: 686E0F06
	v_mul_lo_u32 v55, v55, s68                                 // 0000000030FC: D2850037 00008937
	v_readlane_b32 s82, v3, 16                                 // 000000003104: D2890052 00012103
	s_and_b32 s82, s82, 0xffffff                               // 00000000310C: 8652FF52 00FFFFFF
	v_mul_lo_u32 v6, v5, s82                                   // 000000003114: D2850006 0000A505
	v_readlane_b32 s82, v3, 17                                 // 00000000311C: D2890052 00012303
	s_and_b32 s82, s82, 0xffffff                               // 000000003124: 8652FF52 00FFFFFF
	v_mul_lo_u32 v7, v4, s82                                   // 00000000312C: D2850007 0000A504
	v_add_u32_e32 v56, v6, v7                                  // 000000003134: 68700F06
	v_mul_lo_u32 v56, v56, s68                                 // 000000003138: D2850038 00008938
	v_readlane_b32 s82, v3, 18                                 // 000000003140: D2890052 00012503
	s_and_b32 s82, s82, 0xffffff                               // 000000003148: 8652FF52 00FFFFFF
	v_mul_lo_u32 v6, v5, s82                                   // 000000003150: D2850006 0000A505
	v_readlane_b32 s82, v3, 19                                 // 000000003158: D2890052 00012703
	s_and_b32 s82, s82, 0xffffff                               // 000000003160: 8652FF52 00FFFFFF
	v_mul_lo_u32 v7, v4, s82                                   // 000000003168: D2850007 0000A504
	v_add_u32_e32 v57, v6, v7                                  // 000000003170: 68720F06
	v_mul_lo_u32 v57, v57, s68                                 // 000000003174: D2850039 00008939
	v_and_b32_e32 v4, 31, v0                                   // 00000000317C: 2608009F
	v_lshlrev_b32_e32 v4, 2, v4                                // 000000003180: 24080882
	v_add_u32_e32 v48, v48, v4                                 // 000000003184: 68600930
	v_add_u32_e32 v49, v49, v4                                 // 000000003188: 68620931
	v_add_u32_e32 v50, v50, v4                                 // 00000000318C: 68640932
	v_add_u32_e32 v51, v51, v4                                 // 000000003190: 68660933
	v_add_u32_e32 v52, v52, v4                                 // 000000003194: 68680934
	v_add_u32_e32 v53, v53, v4                                 // 000000003198: 686A0935
	v_add_u32_e32 v54, v54, v4                                 // 00000000319C: 686C0936
	v_add_u32_e32 v55, v55, v4                                 // 0000000031A0: 686E0937
	v_add_u32_e32 v56, v56, v4                                 // 0000000031A4: 68700938
	v_add_u32_e32 v57, v57, v4                                 // 0000000031A8: 68720939
	v_and_b32_e32 v28, 0xffffff, v28                           // 0000000031AC: 263838FF 00FFFFFF
	v_lshlrev_b32_e32 v28, 2, v28                              // 0000000031B4: 24383882
	v_and_b32_e32 v29, 0xffffff, v29                           // 0000000031B8: 263A3AFF 00FFFFFF
	v_lshlrev_b32_e32 v29, 2, v29                              // 0000000031C0: 243A3A82
	v_and_b32_e32 v30, 0xffffff, v30                           // 0000000031C4: 263C3CFF 00FFFFFF
	v_lshlrev_b32_e32 v30, 2, v30                              // 0000000031CC: 243C3C82
	v_and_b32_e32 v31, 0xffffff, v31                           // 0000000031D0: 263E3EFF 00FFFFFF
	v_lshlrev_b32_e32 v31, 2, v31                              // 0000000031D8: 243E3E82
	v_and_b32_e32 v32, 0xffffff, v32                           // 0000000031DC: 264040FF 00FFFFFF
	v_lshlrev_b32_e32 v32, 2, v32                              // 0000000031E4: 24404082
	s_lshl_b32 s3, s66, 2                                      // 0000000031E8: 8E038242
	buffer_load_dword v33, v28, s[28:31], 0 offen              // 0000000031EC: E0501000 8007211C
	buffer_load_dword v34, v29, s[28:31], 0 offen              // 0000000031F4: E0501000 8007221D
	buffer_load_dword v35, v30, s[28:31], 0 offen              // 0000000031FC: E0501000 8007231E
	buffer_load_dword v36, v31, s[28:31], 0 offen              // 000000003204: E0501000 8007241F
	buffer_load_dword v37, v32, s[28:31], 0 offen              // 00000000320C: E0501000 80072520
	buffer_load_dword v24, v22, s[32:35], 0 offen              // 000000003214: E0501000 80081816
	s_mul_i32 s60, 4, s65                                      // 00000000321C: 923C4184
	s_add_u32 s32, s60, s32                                    // 000000003220: 8020203C
	s_addc_u32 s33, 0, s33                                     // 000000003224: 82212180
	buffer_load_dword v26, v22, s[32:35], 0 offen              // 000000003228: E0501000 80081A16
	buffer_load_dword v48, s[20:23], 0 offen lds               // 000000003230: E0511000 80050030
	s_add_u32 m0, 0x100, s48                                   // 000000003238: 807C30FF 00000100
	buffer_load_dword v49, s[20:23], 0 offen lds               // 000000003240: E0511000 80050031
	s_add_u32 m0, 0x200, s48                                   // 000000003248: 807C30FF 00000200
	buffer_load_dword v50, s[20:23], 0 offen lds               // 000000003250: E0511000 80050032
	s_add_u32 m0, 0x300, s48                                   // 000000003258: 807C30FF 00000300
	buffer_load_dword v51, s[20:23], 0 offen lds               // 000000003260: E0511000 80050033
	s_add_u32 m0, 0x400, s48                                   // 000000003268: 807C30FF 00000400
	buffer_load_dword v52, s[20:23], 0 offen lds               // 000000003270: E0511000 80050034
	s_add_u32 m0, 0x500, s48                                   // 000000003278: 807C30FF 00000500
	buffer_load_dword v53, s[20:23], 0 offen lds               // 000000003280: E0511000 80050035
	s_add_u32 m0, 0x600, s48                                   // 000000003288: 807C30FF 00000600
	buffer_load_dword v54, s[20:23], 0 offen lds               // 000000003290: E0511000 80050036
	s_add_u32 m0, 0x700, s48                                   // 000000003298: 807C30FF 00000700
	buffer_load_dword v55, s[20:23], 0 offen lds               // 0000000032A0: E0511000 80050037
	s_add_u32 m0, 0x800, s48                                   // 0000000032A8: 807C30FF 00000800
	buffer_load_dword v56, s[20:23], 0 offen lds               // 0000000032B0: E0511000 80050038
	s_add_u32 m0, 0x900, s48                                   // 0000000032B8: 807C30FF 00000900
	buffer_load_dword v57, s[20:23], 0 offen lds               // 0000000032C0: E0511000 80050039
	s_add_u32 m0, 0, s49                                       // 0000000032C8: 807C3180
	s_add_u32 s20, s57, s20                                    // 0000000032CC: 80141439
	s_addc_u32 s21, 0, s21                                     // 0000000032D0: 82151580
	buffer_load_dword v48, s[20:23], 0 offen lds               // 0000000032D4: E0511000 80050030
	s_add_u32 m0, 0x100, s49                                   // 0000000032DC: 807C31FF 00000100
	buffer_load_dword v49, s[20:23], 0 offen lds               // 0000000032E4: E0511000 80050031
	s_add_u32 m0, 0x200, s49                                   // 0000000032EC: 807C31FF 00000200
	buffer_load_dword v50, s[20:23], 0 offen lds               // 0000000032F4: E0511000 80050032
	s_add_u32 m0, 0x300, s49                                   // 0000000032FC: 807C31FF 00000300
	buffer_load_dword v51, s[20:23], 0 offen lds               // 000000003304: E0511000 80050033
	s_add_u32 m0, 0x400, s49                                   // 00000000330C: 807C31FF 00000400
	buffer_load_dword v52, s[20:23], 0 offen lds               // 000000003314: E0511000 80050034
	s_add_u32 m0, 0x500, s49                                   // 00000000331C: 807C31FF 00000500
	buffer_load_dword v53, s[20:23], 0 offen lds               // 000000003324: E0511000 80050035
	s_add_u32 m0, 0x600, s49                                   // 00000000332C: 807C31FF 00000600
	buffer_load_dword v54, s[20:23], 0 offen lds               // 000000003334: E0511000 80050036
	s_add_u32 m0, 0x700, s49                                   // 00000000333C: 807C31FF 00000700
	buffer_load_dword v55, s[20:23], 0 offen lds               // 000000003344: E0511000 80050037
	s_add_u32 m0, 0x800, s49                                   // 00000000334C: 807C31FF 00000800
	buffer_load_dword v56, s[20:23], 0 offen lds               // 000000003354: E0511000 80050038
	s_add_u32 m0, 0x900, s49                                   // 00000000335C: 807C31FF 00000900
	buffer_load_dword v57, s[20:23], 0 offen lds               // 000000003364: E0511000 80050039
	s_add_u32 m0, 0, s48                                       // 00000000336C: 807C3080
	s_add_u32 s20, s57, s20                                    // 000000003370: 80141439
	s_addc_u32 s21, 0, s21                                     // 000000003374: 82151580
	buffer_load_dwordx4 a[80:83], v58, s[24:27], 0 offen       // 000000003378: E05C1000 8086503A
	buffer_load_dwordx4 a[84:87], v58, s[24:27], 0 offen offset:1024// 000000003380: E05C1400 8086543A
	s_add_u32 s24, s58, s24                                    // 000000003388: 8018183A
	s_addc_u32 s25, 0, s25                                     // 00000000338C: 82191980
	s_waitcnt vmcnt(12)                                        // 000000003390: BF8C0F7C
	s_barrier                                                  // 000000003394: BF8A0000
	ds_read_b128 a[0:3], v2                                    // 000000003398: DBFE0000 00000002
	ds_read_b128 a[4:7], v2 offset:64                          // 0000000033A0: DBFE0040 04000002
	ds_read_b128 a[8:11], v2 offset:512                        // 0000000033A8: DBFE0200 08000002
	ds_read_b128 a[12:15], v2 offset:576                       // 0000000033B0: DBFE0240 0C000002
	ds_read_b128 a[16:19], v2 offset:1024                      // 0000000033B8: DBFE0400 10000002
	ds_read_b128 a[20:23], v2 offset:1088                      // 0000000033C0: DBFE0440 14000002
	ds_read_b128 a[24:27], v2 offset:1536                      // 0000000033C8: DBFE0600 18000002
	ds_read_b128 a[28:31], v2 offset:1600                      // 0000000033D0: DBFE0640 1C000002
	ds_read_b128 a[32:35], v2 offset:2048                      // 0000000033D8: DBFE0800 20000002
	ds_read_b128 a[36:39], v2 offset:2112                      // 0000000033E0: DBFE0840 24000002
	s_cmp_lt_i32 s7, 2                                         // 0000000033E8: BF048207
	s_cbranch_scc0 label_0C6B                                  // 0000000033EC: BF8409EC

00000000000033f0 <label_027C>:
	s_waitcnt vmcnt(0) lgkmcnt(0)                              // 0000000033F0: BF8C0070
	s_barrier                                                  // 0000000033F4: BF8A0000
	v_mfma_f32_16x16x32_fp8_fp8 v[60:63], a[80:81], a[0:1], v[60:63]// 0000000033F8: D3F3003C 1CF20150
	v_mfma_f32_16x16x32_fp8_fp8 v[60:63], a[82:83], a[2:3], v[60:63]// 000000003400: D3F3003C 1CF20552
	buffer_load_dwordx4 a[88:91], v58, s[84:87], 0 offen       // 000000003408: E05C1000 8095583A
	v_mfma_f32_16x16x32_fp8_fp8 v[60:63], a[84:85], a[4:5], v[60:63]// 000000003410: D3F3003C 1CF20954
	v_mfma_f32_16x16x32_fp8_fp8 v[60:63], a[86:87], a[6:7], v[60:63]// 000000003418: D3F3003C 1CF20D56
	v_mfma_f32_16x16x32_fp8_fp8 v[64:67], a[80:81], a[8:9], v[64:67]// 000000003420: D3F30040 1D021150
	v_mfma_f32_16x16x32_fp8_fp8 v[64:67], a[82:83], a[10:11], v[64:67]// 000000003428: D3F30040 1D021552
	buffer_load_dwordx4 a[92:95], v58, s[84:87], 0 offen offset:1024// 000000003430: E05C1400 80955C3A
	buffer_load_dword v48, s[20:23], 0 offen lds               // 000000003438: E0511000 80050030
	s_add_u32 m0, 0x100, s48                                   // 000000003440: 807C30FF 00000100
	v_mfma_f32_16x16x32_fp8_fp8 v[64:67], a[84:85], a[12:13], v[64:67]// 000000003448: D3F30040 1D021954
	v_mfma_f32_16x16x32_fp8_fp8 v[64:67], a[86:87], a[14:15], v[64:67]// 000000003450: D3F30040 1D021D56
	buffer_load_dword v49, s[20:23], 0 offen lds               // 000000003458: E0511000 80050031
	s_add_u32 m0, 0x200, s48                                   // 000000003460: 807C30FF 00000200
	v_mfma_f32_16x16x32_fp8_fp8 v[68:71], a[80:81], a[16:17], v[68:71]// 000000003468: D3F30044 1D122150
	v_mfma_f32_16x16x32_fp8_fp8 v[68:71], a[82:83], a[18:19], v[68:71]// 000000003470: D3F30044 1D122552
	buffer_load_dword v50, s[20:23], 0 offen lds               // 000000003478: E0511000 80050032
	s_add_u32 m0, 0x300, s48                                   // 000000003480: 807C30FF 00000300
	v_mfma_f32_16x16x32_fp8_fp8 v[68:71], a[84:85], a[20:21], v[68:71]// 000000003488: D3F30044 1D122954
	v_mfma_f32_16x16x32_fp8_fp8 v[68:71], a[86:87], a[22:23], v[68:71]// 000000003490: D3F30044 1D122D56
	buffer_load_dword v51, s[20:23], 0 offen lds               // 000000003498: E0511000 80050033
	s_add_u32 m0, 0x400, s48                                   // 0000000034A0: 807C30FF 00000400
	v_mfma_f32_16x16x32_fp8_fp8 v[72:75], a[80:81], a[24:25], v[72:75]// 0000000034A8: D3F30048 1D223150
	v_mfma_f32_16x16x32_fp8_fp8 v[72:75], a[82:83], a[26:27], v[72:75]// 0000000034B0: D3F30048 1D223552
	buffer_load_dword v52, s[20:23], 0 offen lds               // 0000000034B8: E0511000 80050034
	s_add_u32 m0, 0x500, s48                                   // 0000000034C0: 807C30FF 00000500
	v_mfma_f32_16x16x32_fp8_fp8 v[72:75], a[84:85], a[28:29], v[72:75]// 0000000034C8: D3F30048 1D223954
	v_mfma_f32_16x16x32_fp8_fp8 v[72:75], a[86:87], a[30:31], v[72:75]// 0000000034D0: D3F30048 1D223D56
	buffer_load_dword v53, s[20:23], 0 offen lds               // 0000000034D8: E0511000 80050035
	s_add_u32 m0, 0x600, s48                                   // 0000000034E0: 807C30FF 00000600
	v_mfma_f32_16x16x32_fp8_fp8 v[76:79], a[80:81], a[32:33], v[76:79]// 0000000034E8: D3F3004C 1D324150
	v_mfma_f32_16x16x32_fp8_fp8 v[76:79], a[82:83], a[34:35], v[76:79]// 0000000034F0: D3F3004C 1D324552
	buffer_load_dword v54, s[20:23], 0 offen lds               // 0000000034F8: E0511000 80050036
	s_add_u32 m0, 0x700, s48                                   // 000000003500: 807C30FF 00000700
	s_add_u32 s60, 0x80, s80                                   // 000000003508: 803C50FF 00000080
	s_cmp_lt_u32 s60, s81                                      // 000000003510: BF0A513C
	s_cselect_b32 s83, s83, 0                                  // 000000003514: 85538053
	v_mfma_f32_16x16x32_fp8_fp8 v[76:79], a[84:85], a[36:37], v[76:79]// 000000003518: D3F3004C 1D324954
	v_mfma_f32_16x16x32_fp8_fp8 v[76:79], a[86:87], a[38:39], v[76:79]// 000000003520: D3F3004C 1D324D56
	buffer_load_dword v55, s[20:23], 0 offen lds               // 000000003528: E0511000 80050037
	s_add_u32 m0, 0x800, s48                                   // 000000003530: 807C30FF 00000800
	buffer_load_dword v56, s[20:23], 0 offen lds               // 000000003538: E0511000 80050038
	s_add_u32 m0, 0x900, s48                                   // 000000003540: 807C30FF 00000900
	buffer_load_dword v57, s[20:23], 0 offen lds               // 000000003548: E0511000 80050039
	s_add_u32 m0, 0, s49                                       // 000000003550: 807C3180
	s_waitcnt vmcnt(10)                                        // 000000003554: BF8C0F7A
	v_mfma_f32_16x16x32_fp8_fp8 v[80:83], a[88:89], a[0:1], v[80:83]// 000000003558: D3F30050 1D420158
	v_mfma_f32_16x16x32_fp8_fp8 v[80:83], a[90:91], a[2:3], v[80:83]// 000000003560: D3F30050 1D42055A
	buffer_load_dwordx4 a[80:83], v58, s[24:27], 0 offen       // 000000003568: E05C1000 8086503A
	v_mfma_f32_16x16x32_fp8_fp8 v[80:83], a[92:93], a[4:5], v[80:83]// 000000003570: D3F30050 1D42095C
	v_mfma_f32_16x16x32_fp8_fp8 v[80:83], a[94:95], a[6:7], v[80:83]// 000000003578: D3F30050 1D420D5E
	ds_read_b128 a[40:43], v2 offset:10368                     // 000000003580: DBFE2880 28000002
	ds_read_b128 a[44:47], v2 offset:10432                     // 000000003588: DBFE28C0 2C000002
	v_mfma_f32_16x16x32_fp8_fp8 v[84:87], a[88:89], a[8:9], v[84:87]// 000000003590: D3F30054 1D521158
	v_mfma_f32_16x16x32_fp8_fp8 v[84:87], a[90:91], a[10:11], v[84:87]// 000000003598: D3F30054 1D52155A
	buffer_load_dwordx4 a[84:87], v58, s[24:27], 0 offen offset:1024// 0000000035A0: E05C1400 8086543A
	v_mfma_f32_16x16x32_fp8_fp8 v[84:87], a[92:93], a[12:13], v[84:87]// 0000000035A8: D3F30054 1D52195C
	v_mfma_f32_16x16x32_fp8_fp8 v[84:87], a[94:95], a[14:15], v[84:87]// 0000000035B0: D3F30054 1D521D5E
	ds_read_b128 a[48:51], v2 offset:10880                     // 0000000035B8: DBFE2A80 30000002
	ds_read_b128 a[52:55], v2 offset:10944                     // 0000000035C0: DBFE2AC0 34000002
	v_mfma_f32_16x16x32_fp8_fp8 v[88:91], a[88:89], a[16:17], v[88:91]// 0000000035C8: D3F30058 1D622158
	v_mfma_f32_16x16x32_fp8_fp8 v[88:91], a[90:91], a[18:19], v[88:91]// 0000000035D0: D3F30058 1D62255A
	v_mfma_f32_16x16x32_fp8_fp8 v[88:91], a[92:93], a[20:21], v[88:91]// 0000000035D8: D3F30058 1D62295C
	v_mfma_f32_16x16x32_fp8_fp8 v[88:91], a[94:95], a[22:23], v[88:91]// 0000000035E0: D3F30058 1D622D5E
	ds_read_b128 a[56:59], v2 offset:11392                     // 0000000035E8: DBFE2C80 38000002
	ds_read_b128 a[60:63], v2 offset:11456                     // 0000000035F0: DBFE2CC0 3C000002
	v_mfma_f32_16x16x32_fp8_fp8 v[92:95], a[88:89], a[24:25], v[92:95]// 0000000035F8: D3F3005C 1D723158
	v_mfma_f32_16x16x32_fp8_fp8 v[92:95], a[90:91], a[26:27], v[92:95]// 000000003600: D3F3005C 1D72355A
	v_mfma_f32_16x16x32_fp8_fp8 v[92:95], a[92:93], a[28:29], v[92:95]// 000000003608: D3F3005C 1D72395C
	s_add_u32 s60, 0x180, s80                                  // 000000003610: 803C50FF 00000180
	s_cmp_lt_u32 s60, s81                                      // 000000003618: BF0A513C
	s_cselect_b32 s57, s57, 0                                  // 00000000361C: 85398039
	v_mfma_f32_16x16x32_fp8_fp8 v[92:95], a[94:95], a[30:31], v[92:95]// 000000003620: D3F3005C 1D723D5E
	ds_read_b128 a[64:67], v2 offset:11904                     // 000000003628: DBFE2E80 40000002
	ds_read_b128 a[68:71], v2 offset:11968                     // 000000003630: DBFE2EC0 44000002
	s_add_u32 s60, 0x100, s80                                  // 000000003638: 803C50FF 00000100
	s_cmp_lt_u32 s60, s81                                      // 000000003640: BF0A513C
	s_cselect_b32 s58, s58, 0                                  // 000000003644: 853A803A
	v_mfma_f32_16x16x32_fp8_fp8 v[96:99], a[88:89], a[32:33], v[96:99]// 000000003648: D3F30060 1D824158
	s_add_u32 s24, s58, s24                                    // 000000003650: 8018183A
	s_addc_u32 s25, 0, s25                                     // 000000003654: 82191980
	v_mfma_f32_16x16x32_fp8_fp8 v[96:99], a[90:91], a[34:35], v[96:99]// 000000003658: D3F30060 1D82455A
	s_add_u32 s20, s57, s20                                    // 000000003660: 80141439
	s_addc_u32 s21, 0, s21                                     // 000000003664: 82151580
	v_mfma_f32_16x16x32_fp8_fp8 v[96:99], a[92:93], a[36:37], v[96:99]// 000000003668: D3F30060 1D82495C
	s_add_u32 s84, s83, s84                                    // 000000003670: 80545453
	s_addc_u32 s85, 0, s85                                     // 000000003674: 82555580
	v_mfma_f32_16x16x32_fp8_fp8 v[96:99], a[94:95], a[38:39], v[96:99]// 000000003678: D3F30060 1D824D5E
	ds_read_b128 a[72:75], v2 offset:12416                     // 000000003680: DBFE3080 48000002
	ds_read_b128 a[76:79], v2 offset:12480                     // 000000003688: DBFE30C0 4C000002
	s_addk_i32 s80, 0x80                                       // 000000003690: B7500080
	s_cmp_lt_i32 s80, s81                                      // 000000003694: BF045150
	s_cbranch_scc0 label_03D3                                  // 000000003698: BF8400AC
	s_waitcnt vmcnt(0) lgkmcnt(0)                              // 00000000369C: BF8C0070
	s_barrier                                                  // 0000000036A0: BF8A0000
	v_mfma_f32_16x16x32_fp8_fp8 v[60:63], a[80:81], a[40:41], v[60:63]// 0000000036A4: D3F3003C 1CF25150
	v_mfma_f32_16x16x32_fp8_fp8 v[60:63], a[82:83], a[42:43], v[60:63]// 0000000036AC: D3F3003C 1CF25552
	buffer_load_dwordx4 a[88:91], v58, s[84:87], 0 offen       // 0000000036B4: E05C1000 8095583A
	v_mfma_f32_16x16x32_fp8_fp8 v[60:63], a[84:85], a[44:45], v[60:63]// 0000000036BC: D3F3003C 1CF25954
	v_mfma_f32_16x16x32_fp8_fp8 v[60:63], a[86:87], a[46:47], v[60:63]// 0000000036C4: D3F3003C 1CF25D56
	v_mfma_f32_16x16x32_fp8_fp8 v[64:67], a[80:81], a[48:49], v[64:67]// 0000000036CC: D3F30040 1D026150
	v_mfma_f32_16x16x32_fp8_fp8 v[64:67], a[82:83], a[50:51], v[64:67]// 0000000036D4: D3F30040 1D026552
	buffer_load_dwordx4 a[92:95], v58, s[84:87], 0 offen offset:1024// 0000000036DC: E05C1400 80955C3A
	buffer_load_dword v48, s[20:23], 0 offen lds               // 0000000036E4: E0511000 80050030
	s_add_u32 m0, 0x100, s49                                   // 0000000036EC: 807C31FF 00000100
	v_mfma_f32_16x16x32_fp8_fp8 v[64:67], a[84:85], a[52:53], v[64:67]// 0000000036F4: D3F30040 1D026954
	v_mfma_f32_16x16x32_fp8_fp8 v[64:67], a[86:87], a[54:55], v[64:67]// 0000000036FC: D3F30040 1D026D56
	buffer_load_dword v49, s[20:23], 0 offen lds               // 000000003704: E0511000 80050031
	s_add_u32 m0, 0x200, s49                                   // 00000000370C: 807C31FF 00000200
	v_mfma_f32_16x16x32_fp8_fp8 v[68:71], a[80:81], a[56:57], v[68:71]// 000000003714: D3F30044 1D127150
	v_mfma_f32_16x16x32_fp8_fp8 v[68:71], a[82:83], a[58:59], v[68:71]// 00000000371C: D3F30044 1D127552
	buffer_load_dword v50, s[20:23], 0 offen lds               // 000000003724: E0511000 80050032
	s_add_u32 m0, 0x300, s49                                   // 00000000372C: 807C31FF 00000300
	v_mfma_f32_16x16x32_fp8_fp8 v[68:71], a[84:85], a[60:61], v[68:71]// 000000003734: D3F30044 1D127954
	v_mfma_f32_16x16x32_fp8_fp8 v[68:71], a[86:87], a[62:63], v[68:71]// 00000000373C: D3F30044 1D127D56
	buffer_load_dword v51, s[20:23], 0 offen lds               // 000000003744: E0511000 80050033
	s_add_u32 m0, 0x400, s49                                   // 00000000374C: 807C31FF 00000400
	v_mfma_f32_16x16x32_fp8_fp8 v[72:75], a[80:81], a[64:65], v[72:75]// 000000003754: D3F30048 1D228150
	v_mfma_f32_16x16x32_fp8_fp8 v[72:75], a[82:83], a[66:67], v[72:75]// 00000000375C: D3F30048 1D228552
	buffer_load_dword v52, s[20:23], 0 offen lds               // 000000003764: E0511000 80050034
	s_add_u32 m0, 0x500, s49                                   // 00000000376C: 807C31FF 00000500
	v_mfma_f32_16x16x32_fp8_fp8 v[72:75], a[84:85], a[68:69], v[72:75]// 000000003774: D3F30048 1D228954
	v_mfma_f32_16x16x32_fp8_fp8 v[72:75], a[86:87], a[70:71], v[72:75]// 00000000377C: D3F30048 1D228D56
	buffer_load_dword v53, s[20:23], 0 offen lds               // 000000003784: E0511000 80050035
	s_add_u32 m0, 0x600, s49                                   // 00000000378C: 807C31FF 00000600
	v_mfma_f32_16x16x32_fp8_fp8 v[76:79], a[80:81], a[72:73], v[76:79]// 000000003794: D3F3004C 1D329150
	v_mfma_f32_16x16x32_fp8_fp8 v[76:79], a[82:83], a[74:75], v[76:79]// 00000000379C: D3F3004C 1D329552
	buffer_load_dword v54, s[20:23], 0 offen lds               // 0000000037A4: E0511000 80050036
	s_add_u32 m0, 0x700, s49                                   // 0000000037AC: 807C31FF 00000700
	s_add_u32 s60, 0x80, s80                                   // 0000000037B4: 803C50FF 00000080
	s_cmp_lt_u32 s60, s81                                      // 0000000037BC: BF0A513C
	s_cselect_b32 s83, s83, 0                                  // 0000000037C0: 85538053
	v_mfma_f32_16x16x32_fp8_fp8 v[76:79], a[84:85], a[76:77], v[76:79]// 0000000037C4: D3F3004C 1D329954
	v_mfma_f32_16x16x32_fp8_fp8 v[76:79], a[86:87], a[78:79], v[76:79]// 0000000037CC: D3F3004C 1D329D56
	buffer_load_dword v55, s[20:23], 0 offen lds               // 0000000037D4: E0511000 80050037
	s_add_u32 m0, 0x800, s49                                   // 0000000037DC: 807C31FF 00000800
	buffer_load_dword v56, s[20:23], 0 offen lds               // 0000000037E4: E0511000 80050038
	s_add_u32 m0, 0x900, s49                                   // 0000000037EC: 807C31FF 00000900
	buffer_load_dword v57, s[20:23], 0 offen lds               // 0000000037F4: E0511000 80050039
	s_add_u32 m0, 0, s48                                       // 0000000037FC: 807C3080
	s_waitcnt vmcnt(10)                                        // 000000003800: BF8C0F7A
	v_mfma_f32_16x16x32_fp8_fp8 v[80:83], a[88:89], a[40:41], v[80:83]// 000000003804: D3F30050 1D425158
	v_mfma_f32_16x16x32_fp8_fp8 v[80:83], a[90:91], a[42:43], v[80:83]// 00000000380C: D3F30050 1D42555A
	buffer_load_dwordx4 a[80:83], v58, s[24:27], 0 offen       // 000000003814: E05C1000 8086503A
	v_mfma_f32_16x16x32_fp8_fp8 v[80:83], a[92:93], a[44:45], v[80:83]// 00000000381C: D3F30050 1D42595C
	v_mfma_f32_16x16x32_fp8_fp8 v[80:83], a[94:95], a[46:47], v[80:83]// 000000003824: D3F30050 1D425D5E
	ds_read_b128 a[0:3], v2                                    // 00000000382C: DBFE0000 00000002
	ds_read_b128 a[4:7], v2 offset:64                          // 000000003834: DBFE0040 04000002
	v_mfma_f32_16x16x32_fp8_fp8 v[84:87], a[88:89], a[48:49], v[84:87]// 00000000383C: D3F30054 1D526158
	v_mfma_f32_16x16x32_fp8_fp8 v[84:87], a[90:91], a[50:51], v[84:87]// 000000003844: D3F30054 1D52655A
	buffer_load_dwordx4 a[84:87], v58, s[24:27], 0 offen offset:1024// 00000000384C: E05C1400 8086543A
	v_mfma_f32_16x16x32_fp8_fp8 v[84:87], a[92:93], a[52:53], v[84:87]// 000000003854: D3F30054 1D52695C
	v_mfma_f32_16x16x32_fp8_fp8 v[84:87], a[94:95], a[54:55], v[84:87]// 00000000385C: D3F30054 1D526D5E
	ds_read_b128 a[8:11], v2 offset:512                        // 000000003864: DBFE0200 08000002
	ds_read_b128 a[12:15], v2 offset:576                       // 00000000386C: DBFE0240 0C000002
	v_mfma_f32_16x16x32_fp8_fp8 v[88:91], a[88:89], a[56:57], v[88:91]// 000000003874: D3F30058 1D627158
	v_mfma_f32_16x16x32_fp8_fp8 v[88:91], a[90:91], a[58:59], v[88:91]// 00000000387C: D3F30058 1D62755A
	v_mfma_f32_16x16x32_fp8_fp8 v[88:91], a[92:93], a[60:61], v[88:91]// 000000003884: D3F30058 1D62795C
	v_mfma_f32_16x16x32_fp8_fp8 v[88:91], a[94:95], a[62:63], v[88:91]// 00000000388C: D3F30058 1D627D5E
	ds_read_b128 a[16:19], v2 offset:1024                      // 000000003894: DBFE0400 10000002
	ds_read_b128 a[20:23], v2 offset:1088                      // 00000000389C: DBFE0440 14000002
	v_mfma_f32_16x16x32_fp8_fp8 v[92:95], a[88:89], a[64:65], v[92:95]// 0000000038A4: D3F3005C 1D728158
	v_mfma_f32_16x16x32_fp8_fp8 v[92:95], a[90:91], a[66:67], v[92:95]// 0000000038AC: D3F3005C 1D72855A
	v_mfma_f32_16x16x32_fp8_fp8 v[92:95], a[92:93], a[68:69], v[92:95]// 0000000038B4: D3F3005C 1D72895C
	s_add_u32 s60, 0x180, s80                                  // 0000000038BC: 803C50FF 00000180
	s_cmp_lt_u32 s60, s81                                      // 0000000038C4: BF0A513C
	s_cselect_b32 s57, s57, 0                                  // 0000000038C8: 85398039
	v_mfma_f32_16x16x32_fp8_fp8 v[92:95], a[94:95], a[70:71], v[92:95]// 0000000038CC: D3F3005C 1D728D5E
	ds_read_b128 a[24:27], v2 offset:1536                      // 0000000038D4: DBFE0600 18000002
	ds_read_b128 a[28:31], v2 offset:1600                      // 0000000038DC: DBFE0640 1C000002
	s_add_u32 s60, 0x100, s80                                  // 0000000038E4: 803C50FF 00000100
	s_cmp_lt_u32 s60, s81                                      // 0000000038EC: BF0A513C
	s_cselect_b32 s58, s58, 0                                  // 0000000038F0: 853A803A
	v_mfma_f32_16x16x32_fp8_fp8 v[96:99], a[88:89], a[72:73], v[96:99]// 0000000038F4: D3F30060 1D829158
	s_add_u32 s24, s58, s24                                    // 0000000038FC: 8018183A
	s_addc_u32 s25, 0, s25                                     // 000000003900: 82191980
	v_mfma_f32_16x16x32_fp8_fp8 v[96:99], a[90:91], a[74:75], v[96:99]// 000000003904: D3F30060 1D82955A
	s_add_u32 s20, s57, s20                                    // 00000000390C: 80141439
	s_addc_u32 s21, 0, s21                                     // 000000003910: 82151580
	v_mfma_f32_16x16x32_fp8_fp8 v[96:99], a[92:93], a[76:77], v[96:99]// 000000003914: D3F30060 1D82995C
	s_add_u32 s84, s83, s84                                    // 00000000391C: 80545453
	s_addc_u32 s85, 0, s85                                     // 000000003920: 82555580
	v_mfma_f32_16x16x32_fp8_fp8 v[96:99], a[94:95], a[78:79], v[96:99]// 000000003924: D3F30060 1D829D5E
	ds_read_b128 a[32:35], v2 offset:2048                      // 00000000392C: DBFE0800 20000002
	ds_read_b128 a[36:39], v2 offset:2112                      // 000000003934: DBFE0840 24000002
	s_addk_i32 s80, 0x80                                       // 00000000393C: B7500080
	s_cmp_lt_i32 s80, s81                                      // 000000003940: BF045150
	s_cbranch_scc0 label_03D3                                  // 000000003944: BF840001
	s_branch label_027C                                        // 000000003948: BF82FEA9

000000000000394c <label_03D3>:
	v_mul_f32_dpp v60, v24, v60 row_newbcast:0 row_mask:0xf bank_mask:0xf// 00000000394C: 0A7878FA FF015018
	v_mul_f32_dpp v61, v24, v61 row_newbcast:1 row_mask:0xf bank_mask:0xf// 000000003954: 0A7A7AFA FF015118
	v_mul_f32_dpp v62, v24, v62 row_newbcast:2 row_mask:0xf bank_mask:0xf// 00000000395C: 0A7C7CFA FF015218
	v_mul_f32_dpp v63, v24, v63 row_newbcast:3 row_mask:0xf bank_mask:0xf// 000000003964: 0A7E7EFA FF015318
	v_mul_f32_dpp v64, v24, v64 row_newbcast:0 row_mask:0xf bank_mask:0xf// 00000000396C: 0A8080FA FF015018
	v_mul_f32_dpp v65, v24, v65 row_newbcast:1 row_mask:0xf bank_mask:0xf// 000000003974: 0A8282FA FF015118
	v_mul_f32_dpp v66, v24, v66 row_newbcast:2 row_mask:0xf bank_mask:0xf// 00000000397C: 0A8484FA FF015218
	v_mul_f32_dpp v67, v24, v67 row_newbcast:3 row_mask:0xf bank_mask:0xf// 000000003984: 0A8686FA FF015318
	v_mul_f32_dpp v68, v24, v68 row_newbcast:0 row_mask:0xf bank_mask:0xf// 00000000398C: 0A8888FA FF015018
	v_mul_f32_dpp v69, v24, v69 row_newbcast:1 row_mask:0xf bank_mask:0xf// 000000003994: 0A8A8AFA FF015118
	v_mul_f32_dpp v70, v24, v70 row_newbcast:2 row_mask:0xf bank_mask:0xf// 00000000399C: 0A8C8CFA FF015218
	v_mul_f32_dpp v71, v24, v71 row_newbcast:3 row_mask:0xf bank_mask:0xf// 0000000039A4: 0A8E8EFA FF015318
	v_mul_f32_dpp v72, v24, v72 row_newbcast:0 row_mask:0xf bank_mask:0xf// 0000000039AC: 0A9090FA FF015018
	v_mul_f32_dpp v73, v24, v73 row_newbcast:1 row_mask:0xf bank_mask:0xf// 0000000039B4: 0A9292FA FF015118
	v_mul_f32_dpp v74, v24, v74 row_newbcast:2 row_mask:0xf bank_mask:0xf// 0000000039BC: 0A9494FA FF015218
	v_mul_f32_dpp v75, v24, v75 row_newbcast:3 row_mask:0xf bank_mask:0xf// 0000000039C4: 0A9696FA FF015318
	v_mul_f32_dpp v76, v24, v76 row_newbcast:0 row_mask:0xf bank_mask:0xf// 0000000039CC: 0A9898FA FF015018
	v_mul_f32_dpp v77, v24, v77 row_newbcast:1 row_mask:0xf bank_mask:0xf// 0000000039D4: 0A9A9AFA FF015118
	v_mul_f32_dpp v78, v24, v78 row_newbcast:2 row_mask:0xf bank_mask:0xf// 0000000039DC: 0A9C9CFA FF015218
	v_mul_f32_dpp v79, v24, v79 row_newbcast:3 row_mask:0xf bank_mask:0xf// 0000000039E4: 0A9E9EFA FF015318
	v_mul_f32_dpp v80, v26, v80 row_newbcast:0 row_mask:0xf bank_mask:0xf// 0000000039EC: 0AA0A0FA FF01501A
	v_mul_f32_dpp v81, v26, v81 row_newbcast:1 row_mask:0xf bank_mask:0xf// 0000000039F4: 0AA2A2FA FF01511A
	v_mul_f32_dpp v82, v26, v82 row_newbcast:2 row_mask:0xf bank_mask:0xf// 0000000039FC: 0AA4A4FA FF01521A
	v_mul_f32_dpp v83, v26, v83 row_newbcast:3 row_mask:0xf bank_mask:0xf// 000000003A04: 0AA6A6FA FF01531A
	v_mul_f32_dpp v84, v26, v84 row_newbcast:0 row_mask:0xf bank_mask:0xf// 000000003A0C: 0AA8A8FA FF01501A
	v_mul_f32_dpp v85, v26, v85 row_newbcast:1 row_mask:0xf bank_mask:0xf// 000000003A14: 0AAAAAFA FF01511A
	v_mul_f32_dpp v86, v26, v86 row_newbcast:2 row_mask:0xf bank_mask:0xf// 000000003A1C: 0AACACFA FF01521A
	v_mul_f32_dpp v87, v26, v87 row_newbcast:3 row_mask:0xf bank_mask:0xf// 000000003A24: 0AAEAEFA FF01531A
	v_mul_f32_dpp v88, v26, v88 row_newbcast:0 row_mask:0xf bank_mask:0xf// 000000003A2C: 0AB0B0FA FF01501A
	v_mul_f32_dpp v89, v26, v89 row_newbcast:1 row_mask:0xf bank_mask:0xf// 000000003A34: 0AB2B2FA FF01511A
	v_mul_f32_dpp v90, v26, v90 row_newbcast:2 row_mask:0xf bank_mask:0xf// 000000003A3C: 0AB4B4FA FF01521A
	v_mul_f32_dpp v91, v26, v91 row_newbcast:3 row_mask:0xf bank_mask:0xf// 000000003A44: 0AB6B6FA FF01531A
	v_mul_f32_dpp v92, v26, v92 row_newbcast:0 row_mask:0xf bank_mask:0xf// 000000003A4C: 0AB8B8FA FF01501A
	v_mul_f32_dpp v93, v26, v93 row_newbcast:1 row_mask:0xf bank_mask:0xf// 000000003A54: 0ABABAFA FF01511A
	v_mul_f32_dpp v94, v26, v94 row_newbcast:2 row_mask:0xf bank_mask:0xf// 000000003A5C: 0ABCBCFA FF01521A
	v_mul_f32_dpp v95, v26, v95 row_newbcast:3 row_mask:0xf bank_mask:0xf// 000000003A64: 0ABEBEFA FF01531A
	v_mul_f32_dpp v96, v26, v96 row_newbcast:0 row_mask:0xf bank_mask:0xf// 000000003A6C: 0AC0C0FA FF01501A
	v_mul_f32_dpp v97, v26, v97 row_newbcast:1 row_mask:0xf bank_mask:0xf// 000000003A74: 0AC2C2FA FF01511A
	v_mul_f32_dpp v98, v26, v98 row_newbcast:2 row_mask:0xf bank_mask:0xf// 000000003A7C: 0AC4C4FA FF01521A
	v_mul_f32_dpp v99, v26, v99 row_newbcast:3 row_mask:0xf bank_mask:0xf// 000000003A84: 0AC6C6FA FF01531A
	v_mov_b32_e32 v4, v33                                      // 000000003A8C: 7E080321
	v_mov_b32_e32 v5, v4                                       // 000000003A90: 7E0A0304
	v_pk_mul_f32 v[60:61], v[4:5], v[60:61]                    // 000000003A94: D3B1403C 18027904
	v_pk_mul_f32 v[80:81], v[4:5], v[80:81]                    // 000000003A9C: D3B14050 1802A104
	v_pk_mul_f32 v[62:63], v[4:5], v[62:63]                    // 000000003AA4: D3B1403E 18027D04
	v_pk_mul_f32 v[82:83], v[4:5], v[82:83]                    // 000000003AAC: D3B14052 1802A504
	v_mov_b32_e32 v4, v34                                      // 000000003AB4: 7E080322
	v_mov_b32_e32 v5, v4                                       // 000000003AB8: 7E0A0304
	v_pk_mul_f32 v[64:65], v[4:5], v[64:65]                    // 000000003ABC: D3B14040 18028104
	v_pk_mul_f32 v[84:85], v[4:5], v[84:85]                    // 000000003AC4: D3B14054 1802A904
	v_pk_mul_f32 v[66:67], v[4:5], v[66:67]                    // 000000003ACC: D3B14042 18028504
	v_pk_mul_f32 v[86:87], v[4:5], v[86:87]                    // 000000003AD4: D3B14056 1802AD04
	v_mov_b32_e32 v4, v35                                      // 000000003ADC: 7E080323
	v_mov_b32_e32 v5, v4                                       // 000000003AE0: 7E0A0304
	v_pk_mul_f32 v[68:69], v[4:5], v[68:69]                    // 000000003AE4: D3B14044 18028904
	v_pk_mul_f32 v[88:89], v[4:5], v[88:89]                    // 000000003AEC: D3B14058 1802B104
	v_pk_mul_f32 v[70:71], v[4:5], v[70:71]                    // 000000003AF4: D3B14046 18028D04
	v_pk_mul_f32 v[90:91], v[4:5], v[90:91]                    // 000000003AFC: D3B1405A 1802B504
	v_mov_b32_e32 v4, v36                                      // 000000003B04: 7E080324
	v_mov_b32_e32 v5, v4                                       // 000000003B08: 7E0A0304
	v_pk_mul_f32 v[72:73], v[4:5], v[72:73]                    // 000000003B0C: D3B14048 18029104
	v_pk_mul_f32 v[92:93], v[4:5], v[92:93]                    // 000000003B14: D3B1405C 1802B904
	v_pk_mul_f32 v[74:75], v[4:5], v[74:75]                    // 000000003B1C: D3B1404A 18029504
	v_pk_mul_f32 v[94:95], v[4:5], v[94:95]                    // 000000003B24: D3B1405E 1802BD04
	v_mov_b32_e32 v4, v37                                      // 000000003B2C: 7E080325
	v_mov_b32_e32 v5, v4                                       // 000000003B30: 7E0A0304
	v_pk_mul_f32 v[76:77], v[4:5], v[76:77]                    // 000000003B34: D3B1404C 18029904
	v_pk_mul_f32 v[96:97], v[4:5], v[96:97]                    // 000000003B3C: D3B14060 1802C104
	v_pk_mul_f32 v[78:79], v[4:5], v[78:79]                    // 000000003B44: D3B1404E 18029D04
	v_pk_mul_f32 v[98:99], v[4:5], v[98:99]                    // 000000003B4C: D3B14062 1802C504
	s_cmp_eq_u32 s88, 0                                        // 000000003B54: BF068058
	s_cbranch_scc0 label_081A                                  // 000000003B58: BF8403C3
	s_cmp_eq_u32 s89, 0                                        // 000000003B5C: BF068059
	s_cbranch_scc1 label_0526                                  // 000000003B60: BF8500CD
	v_mov_b32_e32 v8, v1                                       // 000000003B64: 7E100301
	v_mov_b32_e32 v9, v1                                       // 000000003B68: 7E120301
	s_mov_b32 s60, s6                                          // 000000003B6C: BEBC0006
	s_mov_b32 s61, s6                                          // 000000003B70: BEBD0006
	v_pk_mul_f32 v[4:5], v[60:61], v[60:61]                    // 000000003B74: D3B14004 1802793C
	v_pk_mul_f32 v[6:7], v[62:63], v[62:63]                    // 000000003B7C: D3B14006 18027D3E
	v_pk_fma_f32 v[4:5], v[4:5], s[78:79], v[8:9]              // 000000003B84: D3B04004 1C209D04
	v_pk_fma_f32 v[6:7], v[6:7], s[78:79], v[8:9]              // 000000003B8C: D3B04006 1C209D06
	v_pk_mul_f32 v[4:5], v[4:5], v[60:61]                      // 000000003B94: D3B14004 18027904
	v_pk_mul_f32 v[6:7], v[6:7], v[62:63]                      // 000000003B9C: D3B14006 18027D06
	v_pk_mul_f32 v[4:5], v[4:5], s[60:61]                      // 000000003BA4: D3B14004 18007904
	v_pk_mul_f32 v[6:7], v[6:7], s[60:61]                      // 000000003BAC: D3B14006 18007906
	v_exp_f32_e32 v4, v4                                       // 000000003BB4: 7E084104
	v_exp_f32_e32 v5, v5                                       // 000000003BB8: 7E0A4105
	v_exp_f32_e32 v6, v6                                       // 000000003BBC: 7E0C4106
	v_exp_f32_e32 v7, v7                                       // 000000003BC0: 7E0E4107
	v_add_f32_e64 v4, v4, 1.0                                  // 000000003BC4: D1010004 0001E504
	v_add_f32_e64 v5, v5, 1.0                                  // 000000003BCC: D1010005 0001E505
	v_add_f32_e64 v6, v6, 1.0                                  // 000000003BD4: D1010006 0001E506
	v_add_f32_e64 v7, v7, 1.0                                  // 000000003BDC: D1010007 0001E507
	v_rcp_f32_e32 v4, v4                                       // 000000003BE4: 7E084504
	v_rcp_f32_e32 v5, v5                                       // 000000003BE8: 7E0A4505
	v_rcp_f32_e32 v6, v6                                       // 000000003BEC: 7E0C4506
	v_rcp_f32_e32 v7, v7                                       // 000000003BF0: 7E0E4507
	v_mul_f32_e32 v60, v60, v4                                 // 000000003BF4: 0A78093C
	v_mul_f32_e32 v61, v61, v5                                 // 000000003BF8: 0A7A0B3D
	v_mul_f32_e32 v62, v62, v6                                 // 000000003BFC: 0A7C0D3E
	v_mul_f32_e32 v63, v63, v7                                 // 000000003C00: 0A7E0F3F
	v_mul_f32_e32 v60, v60, v80                                // 000000003C04: 0A78A13C
	v_mul_f32_e32 v61, v61, v81                                // 000000003C08: 0A7AA33D
	v_mul_f32_e32 v62, v62, v82                                // 000000003C0C: 0A7CA53E
	v_mul_f32_e32 v63, v63, v83                                // 000000003C10: 0A7EA73F
	v_pk_mul_f32 v[4:5], v[64:65], v[64:65]                    // 000000003C14: D3B14004 18028140
	v_pk_mul_f32 v[6:7], v[66:67], v[66:67]                    // 000000003C1C: D3B14006 18028542
	v_pk_fma_f32 v[4:5], v[4:5], s[78:79], v[8:9]              // 000000003C24: D3B04004 1C209D04
	v_pk_fma_f32 v[6:7], v[6:7], s[78:79], v[8:9]              // 000000003C2C: D3B04006 1C209D06
	v_pk_mul_f32 v[4:5], v[4:5], v[64:65]                      // 000000003C34: D3B14004 18028104
	v_pk_mul_f32 v[6:7], v[6:7], v[66:67]                      // 000000003C3C: D3B14006 18028506
	v_pk_mul_f32 v[4:5], v[4:5], s[60:61]                      // 000000003C44: D3B14004 18007904
	v_pk_mul_f32 v[6:7], v[6:7], s[60:61]                      // 000000003C4C: D3B14006 18007906
	v_exp_f32_e32 v4, v4                                       // 000000003C54: 7E084104
	v_exp_f32_e32 v5, v5                                       // 000000003C58: 7E0A4105
	v_exp_f32_e32 v6, v6                                       // 000000003C5C: 7E0C4106
	v_exp_f32_e32 v7, v7                                       // 000000003C60: 7E0E4107
	v_add_f32_e64 v4, v4, 1.0                                  // 000000003C64: D1010004 0001E504
	v_add_f32_e64 v5, v5, 1.0                                  // 000000003C6C: D1010005 0001E505
	v_add_f32_e64 v6, v6, 1.0                                  // 000000003C74: D1010006 0001E506
	v_add_f32_e64 v7, v7, 1.0                                  // 000000003C7C: D1010007 0001E507
	v_rcp_f32_e32 v4, v4                                       // 000000003C84: 7E084504
	v_rcp_f32_e32 v5, v5                                       // 000000003C88: 7E0A4505
	v_rcp_f32_e32 v6, v6                                       // 000000003C8C: 7E0C4506
	v_rcp_f32_e32 v7, v7                                       // 000000003C90: 7E0E4507
	v_mul_f32_e32 v64, v64, v4                                 // 000000003C94: 0A800940
	v_mul_f32_e32 v65, v65, v5                                 // 000000003C98: 0A820B41
	v_mul_f32_e32 v66, v66, v6                                 // 000000003C9C: 0A840D42
	v_mul_f32_e32 v67, v67, v7                                 // 000000003CA0: 0A860F43
	v_mul_f32_e32 v64, v64, v84                                // 000000003CA4: 0A80A940
	v_mul_f32_e32 v65, v65, v85                                // 000000003CA8: 0A82AB41
	v_mul_f32_e32 v66, v66, v86                                // 000000003CAC: 0A84AD42
	v_mul_f32_e32 v67, v67, v87                                // 000000003CB0: 0A86AF43
	v_pk_mul_f32 v[4:5], v[68:69], v[68:69]                    // 000000003CB4: D3B14004 18028944
	v_pk_mul_f32 v[6:7], v[70:71], v[70:71]                    // 000000003CBC: D3B14006 18028D46
	v_pk_fma_f32 v[4:5], v[4:5], s[78:79], v[8:9]              // 000000003CC4: D3B04004 1C209D04
	v_pk_fma_f32 v[6:7], v[6:7], s[78:79], v[8:9]              // 000000003CCC: D3B04006 1C209D06
	v_pk_mul_f32 v[4:5], v[4:5], v[68:69]                      // 000000003CD4: D3B14004 18028904
	v_pk_mul_f32 v[6:7], v[6:7], v[70:71]                      // 000000003CDC: D3B14006 18028D06
	v_pk_mul_f32 v[4:5], v[4:5], s[60:61]                      // 000000003CE4: D3B14004 18007904
	v_pk_mul_f32 v[6:7], v[6:7], s[60:61]                      // 000000003CEC: D3B14006 18007906
	v_exp_f32_e32 v4, v4                                       // 000000003CF4: 7E084104
	v_exp_f32_e32 v5, v5                                       // 000000003CF8: 7E0A4105
	v_exp_f32_e32 v6, v6                                       // 000000003CFC: 7E0C4106
	v_exp_f32_e32 v7, v7                                       // 000000003D00: 7E0E4107
	v_add_f32_e64 v4, v4, 1.0                                  // 000000003D04: D1010004 0001E504
	v_add_f32_e64 v5, v5, 1.0                                  // 000000003D0C: D1010005 0001E505
	v_add_f32_e64 v6, v6, 1.0                                  // 000000003D14: D1010006 0001E506
	v_add_f32_e64 v7, v7, 1.0                                  // 000000003D1C: D1010007 0001E507
	v_rcp_f32_e32 v4, v4                                       // 000000003D24: 7E084504
	v_rcp_f32_e32 v5, v5                                       // 000000003D28: 7E0A4505
	v_rcp_f32_e32 v6, v6                                       // 000000003D2C: 7E0C4506
	v_rcp_f32_e32 v7, v7                                       // 000000003D30: 7E0E4507
	v_mul_f32_e32 v68, v68, v4                                 // 000000003D34: 0A880944
	v_mul_f32_e32 v69, v69, v5                                 // 000000003D38: 0A8A0B45
	v_mul_f32_e32 v70, v70, v6                                 // 000000003D3C: 0A8C0D46
	v_mul_f32_e32 v71, v71, v7                                 // 000000003D40: 0A8E0F47
	v_mul_f32_e32 v68, v68, v88                                // 000000003D44: 0A88B144
	v_mul_f32_e32 v69, v69, v89                                // 000000003D48: 0A8AB345
	v_mul_f32_e32 v70, v70, v90                                // 000000003D4C: 0A8CB546
	v_mul_f32_e32 v71, v71, v91                                // 000000003D50: 0A8EB747
	v_pk_mul_f32 v[4:5], v[72:73], v[72:73]                    // 000000003D54: D3B14004 18029148
	v_pk_mul_f32 v[6:7], v[74:75], v[74:75]                    // 000000003D5C: D3B14006 1802954A
	v_pk_fma_f32 v[4:5], v[4:5], s[78:79], v[8:9]              // 000000003D64: D3B04004 1C209D04
	v_pk_fma_f32 v[6:7], v[6:7], s[78:79], v[8:9]              // 000000003D6C: D3B04006 1C209D06
	v_pk_mul_f32 v[4:5], v[4:5], v[72:73]                      // 000000003D74: D3B14004 18029104
	v_pk_mul_f32 v[6:7], v[6:7], v[74:75]                      // 000000003D7C: D3B14006 18029506
	v_pk_mul_f32 v[4:5], v[4:5], s[60:61]                      // 000000003D84: D3B14004 18007904
	v_pk_mul_f32 v[6:7], v[6:7], s[60:61]                      // 000000003D8C: D3B14006 18007906
	v_exp_f32_e32 v4, v4                                       // 000000003D94: 7E084104
	v_exp_f32_e32 v5, v5                                       // 000000003D98: 7E0A4105
	v_exp_f32_e32 v6, v6                                       // 000000003D9C: 7E0C4106
	v_exp_f32_e32 v7, v7                                       // 000000003DA0: 7E0E4107
	v_add_f32_e64 v4, v4, 1.0                                  // 000000003DA4: D1010004 0001E504
	v_add_f32_e64 v5, v5, 1.0                                  // 000000003DAC: D1010005 0001E505
	v_add_f32_e64 v6, v6, 1.0                                  // 000000003DB4: D1010006 0001E506
	v_add_f32_e64 v7, v7, 1.0                                  // 000000003DBC: D1010007 0001E507
	v_rcp_f32_e32 v4, v4                                       // 000000003DC4: 7E084504
	v_rcp_f32_e32 v5, v5                                       // 000000003DC8: 7E0A4505
	v_rcp_f32_e32 v6, v6                                       // 000000003DCC: 7E0C4506
	v_rcp_f32_e32 v7, v7                                       // 000000003DD0: 7E0E4507
	v_mul_f32_e32 v72, v72, v4                                 // 000000003DD4: 0A900948
	v_mul_f32_e32 v73, v73, v5                                 // 000000003DD8: 0A920B49
	v_mul_f32_e32 v74, v74, v6                                 // 000000003DDC: 0A940D4A
	v_mul_f32_e32 v75, v75, v7                                 // 000000003DE0: 0A960F4B
	v_mul_f32_e32 v72, v72, v92                                // 000000003DE4: 0A90B948
	v_mul_f32_e32 v73, v73, v93                                // 000000003DE8: 0A92BB49
	v_mul_f32_e32 v74, v74, v94                                // 000000003DEC: 0A94BD4A
	v_mul_f32_e32 v75, v75, v95                                // 000000003DF0: 0A96BF4B
	v_pk_mul_f32 v[4:5], v[76:77], v[76:77]                    // 000000003DF4: D3B14004 1802994C
	v_pk_mul_f32 v[6:7], v[78:79], v[78:79]                    // 000000003DFC: D3B14006 18029D4E
	v_pk_fma_f32 v[4:5], v[4:5], s[78:79], v[8:9]              // 000000003E04: D3B04004 1C209D04
	v_pk_fma_f32 v[6:7], v[6:7], s[78:79], v[8:9]              // 000000003E0C: D3B04006 1C209D06
	v_pk_mul_f32 v[4:5], v[4:5], v[76:77]                      // 000000003E14: D3B14004 18029904
	v_pk_mul_f32 v[6:7], v[6:7], v[78:79]                      // 000000003E1C: D3B14006 18029D06
	v_pk_mul_f32 v[4:5], v[4:5], s[60:61]                      // 000000003E24: D3B14004 18007904
	v_pk_mul_f32 v[6:7], v[6:7], s[60:61]                      // 000000003E2C: D3B14006 18007906
	v_exp_f32_e32 v4, v4                                       // 000000003E34: 7E084104
	v_exp_f32_e32 v5, v5                                       // 000000003E38: 7E0A4105
	v_exp_f32_e32 v6, v6                                       // 000000003E3C: 7E0C4106
	v_exp_f32_e32 v7, v7                                       // 000000003E40: 7E0E4107
	v_add_f32_e64 v4, v4, 1.0                                  // 000000003E44: D1010004 0001E504
	v_add_f32_e64 v5, v5, 1.0                                  // 000000003E4C: D1010005 0001E505
	v_add_f32_e64 v6, v6, 1.0                                  // 000000003E54: D1010006 0001E506
	v_add_f32_e64 v7, v7, 1.0                                  // 000000003E5C: D1010007 0001E507
	v_rcp_f32_e32 v4, v4                                       // 000000003E64: 7E084504
	v_rcp_f32_e32 v5, v5                                       // 000000003E68: 7E0A4505
	v_rcp_f32_e32 v6, v6                                       // 000000003E6C: 7E0C4506
	v_rcp_f32_e32 v7, v7                                       // 000000003E70: 7E0E4507
	v_mul_f32_e32 v76, v76, v4                                 // 000000003E74: 0A98094C
	v_mul_f32_e32 v77, v77, v5                                 // 000000003E78: 0A9A0B4D
	v_mul_f32_e32 v78, v78, v6                                 // 000000003E7C: 0A9C0D4E
	v_mul_f32_e32 v79, v79, v7                                 // 000000003E80: 0A9E0F4F
	v_mul_f32_e32 v76, v76, v96                                // 000000003E84: 0A98C14C
	v_mul_f32_e32 v77, v77, v97                                // 000000003E88: 0A9AC34D
	v_mul_f32_e32 v78, v78, v98                                // 000000003E8C: 0A9CC54E
	v_mul_f32_e32 v79, v79, v99                                // 000000003E90: 0A9EC74F
	s_branch label_05C6                                        // 000000003E94: BF8200A0

0000000000003e98 <label_0526>:
	v_mul_f32_e64 v4, -v60, s6                                 // 000000003E98: D1050004 20000D3C
	v_mul_f32_e64 v5, -v61, s6                                 // 000000003EA0: D1050005 20000D3D
	v_mul_f32_e64 v6, -v62, s6                                 // 000000003EA8: D1050006 20000D3E
	v_mul_f32_e64 v7, -v63, s6                                 // 000000003EB0: D1050007 20000D3F
	v_exp_f32_e32 v4, v4                                       // 000000003EB8: 7E084104
	v_exp_f32_e32 v5, v5                                       // 000000003EBC: 7E0A4105
	v_exp_f32_e32 v6, v6                                       // 000000003EC0: 7E0C4106
	v_exp_f32_e32 v7, v7                                       // 000000003EC4: 7E0E4107
	v_add_f32_e64 v4, v4, 1.0                                  // 000000003EC8: D1010004 0001E504
	v_add_f32_e64 v5, v5, 1.0                                  // 000000003ED0: D1010005 0001E505
	v_add_f32_e64 v6, v6, 1.0                                  // 000000003ED8: D1010006 0001E506
	v_add_f32_e64 v7, v7, 1.0                                  // 000000003EE0: D1010007 0001E507
	v_rcp_f32_e32 v4, v4                                       // 000000003EE8: 7E084504
	v_rcp_f32_e32 v5, v5                                       // 000000003EEC: 7E0A4505
	v_rcp_f32_e32 v6, v6                                       // 000000003EF0: 7E0C4506
	v_rcp_f32_e32 v7, v7                                       // 000000003EF4: 7E0E4507
	v_mul_f32_e32 v60, v60, v4                                 // 000000003EF8: 0A78093C
	v_mul_f32_e32 v61, v61, v5                                 // 000000003EFC: 0A7A0B3D
	v_mul_f32_e32 v62, v62, v6                                 // 000000003F00: 0A7C0D3E
	v_mul_f32_e32 v63, v63, v7                                 // 000000003F04: 0A7E0F3F
	v_mul_f32_e32 v60, v60, v80                                // 000000003F08: 0A78A13C
	v_mul_f32_e32 v61, v61, v81                                // 000000003F0C: 0A7AA33D
	v_mul_f32_e32 v62, v62, v82                                // 000000003F10: 0A7CA53E
	v_mul_f32_e32 v63, v63, v83                                // 000000003F14: 0A7EA73F
	v_mul_f32_e64 v4, -v64, s6                                 // 000000003F18: D1050004 20000D40
	v_mul_f32_e64 v5, -v65, s6                                 // 000000003F20: D1050005 20000D41
	v_mul_f32_e64 v6, -v66, s6                                 // 000000003F28: D1050006 20000D42
	v_mul_f32_e64 v7, -v67, s6                                 // 000000003F30: D1050007 20000D43
	v_exp_f32_e32 v4, v4                                       // 000000003F38: 7E084104
	v_exp_f32_e32 v5, v5                                       // 000000003F3C: 7E0A4105
	v_exp_f32_e32 v6, v6                                       // 000000003F40: 7E0C4106
	v_exp_f32_e32 v7, v7                                       // 000000003F44: 7E0E4107
	v_add_f32_e64 v4, v4, 1.0                                  // 000000003F48: D1010004 0001E504
	v_add_f32_e64 v5, v5, 1.0                                  // 000000003F50: D1010005 0001E505
	v_add_f32_e64 v6, v6, 1.0                                  // 000000003F58: D1010006 0001E506
	v_add_f32_e64 v7, v7, 1.0                                  // 000000003F60: D1010007 0001E507
	v_rcp_f32_e32 v4, v4                                       // 000000003F68: 7E084504
	v_rcp_f32_e32 v5, v5                                       // 000000003F6C: 7E0A4505
	v_rcp_f32_e32 v6, v6                                       // 000000003F70: 7E0C4506
	v_rcp_f32_e32 v7, v7                                       // 000000003F74: 7E0E4507
	v_mul_f32_e32 v64, v64, v4                                 // 000000003F78: 0A800940
	v_mul_f32_e32 v65, v65, v5                                 // 000000003F7C: 0A820B41
	v_mul_f32_e32 v66, v66, v6                                 // 000000003F80: 0A840D42
	v_mul_f32_e32 v67, v67, v7                                 // 000000003F84: 0A860F43
	v_mul_f32_e32 v64, v64, v84                                // 000000003F88: 0A80A940
	v_mul_f32_e32 v65, v65, v85                                // 000000003F8C: 0A82AB41
	v_mul_f32_e32 v66, v66, v86                                // 000000003F90: 0A84AD42
	v_mul_f32_e32 v67, v67, v87                                // 000000003F94: 0A86AF43
	v_mul_f32_e64 v4, -v68, s6                                 // 000000003F98: D1050004 20000D44
	v_mul_f32_e64 v5, -v69, s6                                 // 000000003FA0: D1050005 20000D45
	v_mul_f32_e64 v6, -v70, s6                                 // 000000003FA8: D1050006 20000D46
	v_mul_f32_e64 v7, -v71, s6                                 // 000000003FB0: D1050007 20000D47
	v_exp_f32_e32 v4, v4                                       // 000000003FB8: 7E084104
	v_exp_f32_e32 v5, v5                                       // 000000003FBC: 7E0A4105
	v_exp_f32_e32 v6, v6                                       // 000000003FC0: 7E0C4106
	v_exp_f32_e32 v7, v7                                       // 000000003FC4: 7E0E4107
	v_add_f32_e64 v4, v4, 1.0                                  // 000000003FC8: D1010004 0001E504
	v_add_f32_e64 v5, v5, 1.0                                  // 000000003FD0: D1010005 0001E505
	v_add_f32_e64 v6, v6, 1.0                                  // 000000003FD8: D1010006 0001E506
	v_add_f32_e64 v7, v7, 1.0                                  // 000000003FE0: D1010007 0001E507
	v_rcp_f32_e32 v4, v4                                       // 000000003FE8: 7E084504
	v_rcp_f32_e32 v5, v5                                       // 000000003FEC: 7E0A4505
	v_rcp_f32_e32 v6, v6                                       // 000000003FF0: 7E0C4506
	v_rcp_f32_e32 v7, v7                                       // 000000003FF4: 7E0E4507
	v_mul_f32_e32 v68, v68, v4                                 // 000000003FF8: 0A880944
	v_mul_f32_e32 v69, v69, v5                                 // 000000003FFC: 0A8A0B45
	v_mul_f32_e32 v70, v70, v6                                 // 000000004000: 0A8C0D46
	v_mul_f32_e32 v71, v71, v7                                 // 000000004004: 0A8E0F47
	v_mul_f32_e32 v68, v68, v88                                // 000000004008: 0A88B144
	v_mul_f32_e32 v69, v69, v89                                // 00000000400C: 0A8AB345
	v_mul_f32_e32 v70, v70, v90                                // 000000004010: 0A8CB546
	v_mul_f32_e32 v71, v71, v91                                // 000000004014: 0A8EB747
	v_mul_f32_e64 v4, -v72, s6                                 // 000000004018: D1050004 20000D48
	v_mul_f32_e64 v5, -v73, s6                                 // 000000004020: D1050005 20000D49
	v_mul_f32_e64 v6, -v74, s6                                 // 000000004028: D1050006 20000D4A
	v_mul_f32_e64 v7, -v75, s6                                 // 000000004030: D1050007 20000D4B
	v_exp_f32_e32 v4, v4                                       // 000000004038: 7E084104
	v_exp_f32_e32 v5, v5                                       // 00000000403C: 7E0A4105
	v_exp_f32_e32 v6, v6                                       // 000000004040: 7E0C4106
	v_exp_f32_e32 v7, v7                                       // 000000004044: 7E0E4107
	v_add_f32_e64 v4, v4, 1.0                                  // 000000004048: D1010004 0001E504
	v_add_f32_e64 v5, v5, 1.0                                  // 000000004050: D1010005 0001E505
	v_add_f32_e64 v6, v6, 1.0                                  // 000000004058: D1010006 0001E506
	v_add_f32_e64 v7, v7, 1.0                                  // 000000004060: D1010007 0001E507
	v_rcp_f32_e32 v4, v4                                       // 000000004068: 7E084504
	v_rcp_f32_e32 v5, v5                                       // 00000000406C: 7E0A4505
	v_rcp_f32_e32 v6, v6                                       // 000000004070: 7E0C4506
	v_rcp_f32_e32 v7, v7                                       // 000000004074: 7E0E4507
	v_mul_f32_e32 v72, v72, v4                                 // 000000004078: 0A900948
	v_mul_f32_e32 v73, v73, v5                                 // 00000000407C: 0A920B49
	v_mul_f32_e32 v74, v74, v6                                 // 000000004080: 0A940D4A
	v_mul_f32_e32 v75, v75, v7                                 // 000000004084: 0A960F4B
	v_mul_f32_e32 v72, v72, v92                                // 000000004088: 0A90B948
	v_mul_f32_e32 v73, v73, v93                                // 00000000408C: 0A92BB49
	v_mul_f32_e32 v74, v74, v94                                // 000000004090: 0A94BD4A
	v_mul_f32_e32 v75, v75, v95                                // 000000004094: 0A96BF4B
	v_mul_f32_e64 v4, -v76, s6                                 // 000000004098: D1050004 20000D4C
	v_mul_f32_e64 v5, -v77, s6                                 // 0000000040A0: D1050005 20000D4D
	v_mul_f32_e64 v6, -v78, s6                                 // 0000000040A8: D1050006 20000D4E
	v_mul_f32_e64 v7, -v79, s6                                 // 0000000040B0: D1050007 20000D4F
	v_exp_f32_e32 v4, v4                                       // 0000000040B8: 7E084104
	v_exp_f32_e32 v5, v5                                       // 0000000040BC: 7E0A4105
	v_exp_f32_e32 v6, v6                                       // 0000000040C0: 7E0C4106
	v_exp_f32_e32 v7, v7                                       // 0000000040C4: 7E0E4107
	v_add_f32_e64 v4, v4, 1.0                                  // 0000000040C8: D1010004 0001E504
	v_add_f32_e64 v5, v5, 1.0                                  // 0000000040D0: D1010005 0001E505
	v_add_f32_e64 v6, v6, 1.0                                  // 0000000040D8: D1010006 0001E506
	v_add_f32_e64 v7, v7, 1.0                                  // 0000000040E0: D1010007 0001E507
	v_rcp_f32_e32 v4, v4                                       // 0000000040E8: 7E084504
	v_rcp_f32_e32 v5, v5                                       // 0000000040EC: 7E0A4505
	v_rcp_f32_e32 v6, v6                                       // 0000000040F0: 7E0C4506
	v_rcp_f32_e32 v7, v7                                       // 0000000040F4: 7E0E4507
	v_mul_f32_e32 v76, v76, v4                                 // 0000000040F8: 0A98094C
	v_mul_f32_e32 v77, v77, v5                                 // 0000000040FC: 0A9A0B4D
	v_mul_f32_e32 v78, v78, v6                                 // 000000004100: 0A9C0D4E
	v_mul_f32_e32 v79, v79, v7                                 // 000000004104: 0A9E0F4F
	v_mul_f32_e32 v76, v76, v96                                // 000000004108: 0A98C14C
	v_mul_f32_e32 v77, v77, v97                                // 00000000410C: 0A9AC34D
	v_mul_f32_e32 v78, v78, v98                                // 000000004110: 0A9CC54E
	v_mul_f32_e32 v79, v79, v99                                // 000000004114: 0A9EC74F

0000000000004118 <label_05C6>:
	v_cmp_u_f32_e64 s[46:47], v60, v60                         // 000000004118: D048002E 0002793C
	v_add3_u32 v16, v60, v19, 1                                // 000000004120: D1FF0010 0206273C
	v_cndmask_b32_e64 v4, v16, v18, s[46:47]                   // 000000004128: D1000004 00BA2510
	v_cmp_u_f32_e64 s[46:47], v61, v61                         // 000000004130: D048002E 00027B3D
	v_add3_u32 v16, v61, v19, 1                                // 000000004138: D1FF0010 0206273D
	v_cndmask_b32_e64 v5, v16, v18, s[46:47]                   // 000000004140: D1000005 00BA2510
	v_perm_b32 v60, v5, v4, s52                                // 000000004148: D1ED003C 00D20905
	v_cmp_u_f32_e64 s[46:47], v62, v62                         // 000000004150: D048002E 00027D3E
	v_add3_u32 v16, v62, v19, 1                                // 000000004158: D1FF0010 0206273E
	v_cndmask_b32_e64 v4, v16, v18, s[46:47]                   // 000000004160: D1000004 00BA2510
	v_cmp_u_f32_e64 s[46:47], v63, v63                         // 000000004168: D048002E 00027F3F
	v_add3_u32 v16, v63, v19, 1                                // 000000004170: D1FF0010 0206273F
	v_cndmask_b32_e64 v5, v16, v18, s[46:47]                   // 000000004178: D1000005 00BA2510
	v_perm_b32 v61, v5, v4, s52                                // 000000004180: D1ED003D 00D20905
	v_cmp_u_f32_e64 s[46:47], v64, v64                         // 000000004188: D048002E 00028140
	v_add3_u32 v16, v64, v19, 1                                // 000000004190: D1FF0010 02062740
	v_cndmask_b32_e64 v4, v16, v18, s[46:47]                   // 000000004198: D1000004 00BA2510
	v_cmp_u_f32_e64 s[46:47], v65, v65                         // 0000000041A0: D048002E 00028341
	v_add3_u32 v16, v65, v19, 1                                // 0000000041A8: D1FF0010 02062741
	v_cndmask_b32_e64 v5, v16, v18, s[46:47]                   // 0000000041B0: D1000005 00BA2510
	v_perm_b32 v62, v5, v4, s52                                // 0000000041B8: D1ED003E 00D20905
	v_cmp_u_f32_e64 s[46:47], v66, v66                         // 0000000041C0: D048002E 00028542
	v_add3_u32 v16, v66, v19, 1                                // 0000000041C8: D1FF0010 02062742
	v_cndmask_b32_e64 v4, v16, v18, s[46:47]                   // 0000000041D0: D1000004 00BA2510
	v_cmp_u_f32_e64 s[46:47], v67, v67                         // 0000000041D8: D048002E 00028743
	v_add3_u32 v16, v67, v19, 1                                // 0000000041E0: D1FF0010 02062743
	v_cndmask_b32_e64 v5, v16, v18, s[46:47]                   // 0000000041E8: D1000005 00BA2510
	v_perm_b32 v63, v5, v4, s52                                // 0000000041F0: D1ED003F 00D20905
	v_cmp_u_f32_e64 s[46:47], v68, v68                         // 0000000041F8: D048002E 00028944
	v_add3_u32 v16, v68, v19, 1                                // 000000004200: D1FF0010 02062744
	v_cndmask_b32_e64 v4, v16, v18, s[46:47]                   // 000000004208: D1000004 00BA2510
	v_cmp_u_f32_e64 s[46:47], v69, v69                         // 000000004210: D048002E 00028B45
	v_add3_u32 v16, v69, v19, 1                                // 000000004218: D1FF0010 02062745
	v_cndmask_b32_e64 v5, v16, v18, s[46:47]                   // 000000004220: D1000005 00BA2510
	v_perm_b32 v64, v5, v4, s52                                // 000000004228: D1ED0040 00D20905
	v_cmp_u_f32_e64 s[46:47], v70, v70                         // 000000004230: D048002E 00028D46
	v_add3_u32 v16, v70, v19, 1                                // 000000004238: D1FF0010 02062746
	v_cndmask_b32_e64 v4, v16, v18, s[46:47]                   // 000000004240: D1000004 00BA2510
	v_cmp_u_f32_e64 s[46:47], v71, v71                         // 000000004248: D048002E 00028F47
	v_add3_u32 v16, v71, v19, 1                                // 000000004250: D1FF0010 02062747
	v_cndmask_b32_e64 v5, v16, v18, s[46:47]                   // 000000004258: D1000005 00BA2510
	v_perm_b32 v65, v5, v4, s52                                // 000000004260: D1ED0041 00D20905
	v_cmp_u_f32_e64 s[46:47], v72, v72                         // 000000004268: D048002E 00029148
	v_add3_u32 v16, v72, v19, 1                                // 000000004270: D1FF0010 02062748
	v_cndmask_b32_e64 v4, v16, v18, s[46:47]                   // 000000004278: D1000004 00BA2510
	v_cmp_u_f32_e64 s[46:47], v73, v73                         // 000000004280: D048002E 00029349
	v_add3_u32 v16, v73, v19, 1                                // 000000004288: D1FF0010 02062749
	v_cndmask_b32_e64 v5, v16, v18, s[46:47]                   // 000000004290: D1000005 00BA2510
	v_perm_b32 v66, v5, v4, s52                                // 000000004298: D1ED0042 00D20905
	v_cmp_u_f32_e64 s[46:47], v74, v74                         // 0000000042A0: D048002E 0002954A
	v_add3_u32 v16, v74, v19, 1                                // 0000000042A8: D1FF0010 0206274A
	v_cndmask_b32_e64 v4, v16, v18, s[46:47]                   // 0000000042B0: D1000004 00BA2510
	v_cmp_u_f32_e64 s[46:47], v75, v75                         // 0000000042B8: D048002E 0002974B
	v_add3_u32 v16, v75, v19, 1                                // 0000000042C0: D1FF0010 0206274B
	v_cndmask_b32_e64 v5, v16, v18, s[46:47]                   // 0000000042C8: D1000005 00BA2510
	v_perm_b32 v67, v5, v4, s52                                // 0000000042D0: D1ED0043 00D20905
	v_cmp_u_f32_e64 s[46:47], v76, v76                         // 0000000042D8: D048002E 0002994C
	v_add3_u32 v16, v76, v19, 1                                // 0000000042E0: D1FF0010 0206274C
	v_cndmask_b32_e64 v4, v16, v18, s[46:47]                   // 0000000042E8: D1000004 00BA2510
	v_cmp_u_f32_e64 s[46:47], v77, v77                         // 0000000042F0: D048002E 00029B4D
	v_add3_u32 v16, v77, v19, 1                                // 0000000042F8: D1FF0010 0206274D
	v_cndmask_b32_e64 v5, v16, v18, s[46:47]                   // 000000004300: D1000005 00BA2510
	v_perm_b32 v68, v5, v4, s52                                // 000000004308: D1ED0044 00D20905
	v_cmp_u_f32_e64 s[46:47], v78, v78                         // 000000004310: D048002E 00029D4E
	v_add3_u32 v16, v78, v19, 1                                // 000000004318: D1FF0010 0206274E
	v_cndmask_b32_e64 v4, v16, v18, s[46:47]                   // 000000004320: D1000004 00BA2510
	v_cmp_u_f32_e64 s[46:47], v79, v79                         // 000000004328: D048002E 00029F4F
	v_add3_u32 v16, v79, v19, 1                                // 000000004330: D1FF0010 0206274F
	v_cndmask_b32_e64 v5, v16, v18, s[46:47]                   // 000000004338: D1000005 00BA2510
	v_perm_b32 v69, v5, v4, s52                                // 000000004340: D1ED0045 00D20905
	ds_write_b64 v20, v[60:61]                                 // 000000004348: D89A0000 00003C14
	ds_write_b64 v20, v[62:63] offset:2176                     // 000000004350: D89A0880 00003E14
	ds_write_b64 v20, v[64:65] offset:4352                     // 000000004358: D89A1100 00004014
	ds_write_b64 v20, v[66:67] offset:6528                     // 000000004360: D89A1980 00004214
	ds_write_b64 v20, v[68:69] offset:8704                     // 000000004368: D89A2200 00004414
	v_lshrrev_b32_e32 v4, 5, v0                                // 000000004370: 20080085
	v_xor_b32_e32 v5, 1, v4                                    // 000000004374: 2A0A0881
	s_mul_i32 s60, s65, 2                                      // 000000004378: 923C8241
	s_cmp_eq_u32 s88, 0                                        // 00000000437C: BF068058
	s_cselect_b32 s61, 1, 4                                    // 000000004380: 853D8481
	s_mul_i32 s60, s61, s60                                    // 000000004384: 923C3C3D
	v_readlane_b32 s82, v3, 0                                  // 000000004388: D2890052 00010103
	s_lshr_b32 s61, s82, 24                                    // 000000004390: 8F3D9852
	s_and_b32 s82, s82, 0xffffff                               // 000000004394: 8652FF52 00FFFFFF
	s_mul_i32 s82, s82, s71                                    // 00000000439C: 92524752
	s_mul_i32 s61, s60, s61                                    // 0000000043A0: 923D3D3C
	s_add_u32 s82, s82, s61                                    // 0000000043A4: 80523D52
	v_mul_lo_u32 v6, v5, s82                                   // 0000000043A8: D2850006 0000A505
	v_readlane_b32 s82, v3, 1                                  // 0000000043B0: D2890052 00010303
	s_lshr_b32 s61, s82, 24                                    // 0000000043B8: 8F3D9852
	s_and_b32 s82, s82, 0xffffff                               // 0000000043BC: 8652FF52 00FFFFFF
	s_mul_i32 s82, s82, s71                                    // 0000000043C4: 92524752
	s_mul_i32 s61, s60, s61                                    // 0000000043C8: 923D3D3C
	s_add_u32 s82, s82, s61                                    // 0000000043CC: 80523D52
	v_mul_lo_u32 v7, v4, s82                                   // 0000000043D0: D2850007 0000A504
	v_add_u32_e32 v48, v6, v7                                  // 0000000043D8: 68600F06
	v_readlane_b32 s82, v3, 2                                  // 0000000043DC: D2890052 00010503
	s_lshr_b32 s61, s82, 24                                    // 0000000043E4: 8F3D9852
	s_and_b32 s82, s82, 0xffffff                               // 0000000043E8: 8652FF52 00FFFFFF
	s_mul_i32 s82, s82, s71                                    // 0000000043F0: 92524752
	s_mul_i32 s61, s60, s61                                    // 0000000043F4: 923D3D3C
	s_add_u32 s82, s82, s61                                    // 0000000043F8: 80523D52
	v_mul_lo_u32 v6, v5, s82                                   // 0000000043FC: D2850006 0000A505
	v_readlane_b32 s82, v3, 3                                  // 000000004404: D2890052 00010703
	s_lshr_b32 s61, s82, 24                                    // 00000000440C: 8F3D9852
	s_and_b32 s82, s82, 0xffffff                               // 000000004410: 8652FF52 00FFFFFF
	s_mul_i32 s82, s82, s71                                    // 000000004418: 92524752
	s_mul_i32 s61, s60, s61                                    // 00000000441C: 923D3D3C
	s_add_u32 s82, s82, s61                                    // 000000004420: 80523D52
	v_mul_lo_u32 v7, v4, s82                                   // 000000004424: D2850007 0000A504
	v_add_u32_e32 v49, v6, v7                                  // 00000000442C: 68620F06
	v_readlane_b32 s82, v3, 4                                  // 000000004430: D2890052 00010903
	s_lshr_b32 s61, s82, 24                                    // 000000004438: 8F3D9852
	s_and_b32 s82, s82, 0xffffff                               // 00000000443C: 8652FF52 00FFFFFF
	s_mul_i32 s82, s82, s71                                    // 000000004444: 92524752
	s_mul_i32 s61, s60, s61                                    // 000000004448: 923D3D3C
	s_add_u32 s82, s82, s61                                    // 00000000444C: 80523D52
	v_mul_lo_u32 v6, v5, s82                                   // 000000004450: D2850006 0000A505
	v_readlane_b32 s82, v3, 5                                  // 000000004458: D2890052 00010B03
	s_lshr_b32 s61, s82, 24                                    // 000000004460: 8F3D9852
	s_and_b32 s82, s82, 0xffffff                               // 000000004464: 8652FF52 00FFFFFF
	s_mul_i32 s82, s82, s71                                    // 00000000446C: 92524752
	s_mul_i32 s61, s60, s61                                    // 000000004470: 923D3D3C
	s_add_u32 s82, s82, s61                                    // 000000004474: 80523D52
	v_mul_lo_u32 v7, v4, s82                                   // 000000004478: D2850007 0000A504
	v_add_u32_e32 v50, v6, v7                                  // 000000004480: 68640F06
	v_readlane_b32 s82, v3, 6                                  // 000000004484: D2890052 00010D03
	s_lshr_b32 s61, s82, 24                                    // 00000000448C: 8F3D9852
	s_and_b32 s82, s82, 0xffffff                               // 000000004490: 8652FF52 00FFFFFF
	s_mul_i32 s82, s82, s71                                    // 000000004498: 92524752
	s_mul_i32 s61, s60, s61                                    // 00000000449C: 923D3D3C
	s_add_u32 s82, s82, s61                                    // 0000000044A0: 80523D52
	v_mul_lo_u32 v6, v5, s82                                   // 0000000044A4: D2850006 0000A505
	v_readlane_b32 s82, v3, 7                                  // 0000000044AC: D2890052 00010F03
	s_lshr_b32 s61, s82, 24                                    // 0000000044B4: 8F3D9852
	s_and_b32 s82, s82, 0xffffff                               // 0000000044B8: 8652FF52 00FFFFFF
	s_mul_i32 s82, s82, s71                                    // 0000000044C0: 92524752
	s_mul_i32 s61, s60, s61                                    // 0000000044C4: 923D3D3C
	s_add_u32 s82, s82, s61                                    // 0000000044C8: 80523D52
	v_mul_lo_u32 v7, v4, s82                                   // 0000000044CC: D2850007 0000A504
	v_add_u32_e32 v51, v6, v7                                  // 0000000044D4: 68660F06
	v_readlane_b32 s82, v3, 8                                  // 0000000044D8: D2890052 00011103
	s_lshr_b32 s61, s82, 24                                    // 0000000044E0: 8F3D9852
	s_and_b32 s82, s82, 0xffffff                               // 0000000044E4: 8652FF52 00FFFFFF
	s_mul_i32 s82, s82, s71                                    // 0000000044EC: 92524752
	s_mul_i32 s61, s60, s61                                    // 0000000044F0: 923D3D3C
	s_add_u32 s82, s82, s61                                    // 0000000044F4: 80523D52
	v_mul_lo_u32 v6, v5, s82                                   // 0000000044F8: D2850006 0000A505
	v_readlane_b32 s82, v3, 9                                  // 000000004500: D2890052 00011303
	s_lshr_b32 s61, s82, 24                                    // 000000004508: 8F3D9852
	s_and_b32 s82, s82, 0xffffff                               // 00000000450C: 8652FF52 00FFFFFF
	s_mul_i32 s82, s82, s71                                    // 000000004514: 92524752
	s_mul_i32 s61, s60, s61                                    // 000000004518: 923D3D3C
	s_add_u32 s82, s82, s61                                    // 00000000451C: 80523D52
	v_mul_lo_u32 v7, v4, s82                                   // 000000004520: D2850007 0000A504
	v_add_u32_e32 v52, v6, v7                                  // 000000004528: 68680F06
	v_readlane_b32 s82, v3, 10                                 // 00000000452C: D2890052 00011503
	s_lshr_b32 s61, s82, 24                                    // 000000004534: 8F3D9852
	s_and_b32 s82, s82, 0xffffff                               // 000000004538: 8652FF52 00FFFFFF
	s_mul_i32 s82, s82, s71                                    // 000000004540: 92524752
	s_mul_i32 s61, s60, s61                                    // 000000004544: 923D3D3C
	s_add_u32 s82, s82, s61                                    // 000000004548: 80523D52
	v_mul_lo_u32 v6, v5, s82                                   // 00000000454C: D2850006 0000A505
	v_readlane_b32 s82, v3, 11                                 // 000000004554: D2890052 00011703
	s_lshr_b32 s61, s82, 24                                    // 00000000455C: 8F3D9852
	s_and_b32 s82, s82, 0xffffff                               // 000000004560: 8652FF52 00FFFFFF
	s_mul_i32 s82, s82, s71                                    // 000000004568: 92524752
	s_mul_i32 s61, s60, s61                                    // 00000000456C: 923D3D3C
	s_add_u32 s82, s82, s61                                    // 000000004570: 80523D52
	v_mul_lo_u32 v7, v4, s82                                   // 000000004574: D2850007 0000A504
	v_add_u32_e32 v53, v6, v7                                  // 00000000457C: 686A0F06
	v_readlane_b32 s82, v3, 12                                 // 000000004580: D2890052 00011903
	s_lshr_b32 s61, s82, 24                                    // 000000004588: 8F3D9852
	s_and_b32 s82, s82, 0xffffff                               // 00000000458C: 8652FF52 00FFFFFF
	s_mul_i32 s82, s82, s71                                    // 000000004594: 92524752
	s_mul_i32 s61, s60, s61                                    // 000000004598: 923D3D3C
	s_add_u32 s82, s82, s61                                    // 00000000459C: 80523D52
	v_mul_lo_u32 v6, v5, s82                                   // 0000000045A0: D2850006 0000A505
	v_readlane_b32 s82, v3, 13                                 // 0000000045A8: D2890052 00011B03
	s_lshr_b32 s61, s82, 24                                    // 0000000045B0: 8F3D9852
	s_and_b32 s82, s82, 0xffffff                               // 0000000045B4: 8652FF52 00FFFFFF
	s_mul_i32 s82, s82, s71                                    // 0000000045BC: 92524752
	s_mul_i32 s61, s60, s61                                    // 0000000045C0: 923D3D3C
	s_add_u32 s82, s82, s61                                    // 0000000045C4: 80523D52
	v_mul_lo_u32 v7, v4, s82                                   // 0000000045C8: D2850007 0000A504
	v_add_u32_e32 v54, v6, v7                                  // 0000000045D0: 686C0F06
	v_readlane_b32 s82, v3, 14                                 // 0000000045D4: D2890052 00011D03
	s_lshr_b32 s61, s82, 24                                    // 0000000045DC: 8F3D9852
	s_and_b32 s82, s82, 0xffffff                               // 0000000045E0: 8652FF52 00FFFFFF
	s_mul_i32 s82, s82, s71                                    // 0000000045E8: 92524752
	s_mul_i32 s61, s60, s61                                    // 0000000045EC: 923D3D3C
	s_add_u32 s82, s82, s61                                    // 0000000045F0: 80523D52
	v_mul_lo_u32 v6, v5, s82                                   // 0000000045F4: D2850006 0000A505
	v_readlane_b32 s82, v3, 15                                 // 0000000045FC: D2890052 00011F03
	s_lshr_b32 s61, s82, 24                                    // 000000004604: 8F3D9852
	s_and_b32 s82, s82, 0xffffff                               // 000000004608: 8652FF52 00FFFFFF
	s_mul_i32 s82, s82, s71                                    // 000000004610: 92524752
	s_mul_i32 s61, s60, s61                                    // 000000004614: 923D3D3C
	s_add_u32 s82, s82, s61                                    // 000000004618: 80523D52
	v_mul_lo_u32 v7, v4, s82                                   // 00000000461C: D2850007 0000A504
	v_add_u32_e32 v55, v6, v7                                  // 000000004624: 686E0F06
	v_readlane_b32 s82, v3, 16                                 // 000000004628: D2890052 00012103
	s_lshr_b32 s61, s82, 24                                    // 000000004630: 8F3D9852
	s_and_b32 s82, s82, 0xffffff                               // 000000004634: 8652FF52 00FFFFFF
	s_mul_i32 s82, s82, s71                                    // 00000000463C: 92524752
	s_mul_i32 s61, s60, s61                                    // 000000004640: 923D3D3C
	s_add_u32 s82, s82, s61                                    // 000000004644: 80523D52
	v_mul_lo_u32 v6, v5, s82                                   // 000000004648: D2850006 0000A505
	v_readlane_b32 s82, v3, 17                                 // 000000004650: D2890052 00012303
	s_lshr_b32 s61, s82, 24                                    // 000000004658: 8F3D9852
	s_and_b32 s82, s82, 0xffffff                               // 00000000465C: 8652FF52 00FFFFFF
	s_mul_i32 s82, s82, s71                                    // 000000004664: 92524752
	s_mul_i32 s61, s60, s61                                    // 000000004668: 923D3D3C
	s_add_u32 s82, s82, s61                                    // 00000000466C: 80523D52
	v_mul_lo_u32 v7, v4, s82                                   // 000000004670: D2850007 0000A504
	v_add_u32_e32 v56, v6, v7                                  // 000000004678: 68700F06
	v_readlane_b32 s82, v3, 18                                 // 00000000467C: D2890052 00012503
	s_lshr_b32 s61, s82, 24                                    // 000000004684: 8F3D9852
	s_and_b32 s82, s82, 0xffffff                               // 000000004688: 8652FF52 00FFFFFF
	s_mul_i32 s82, s82, s71                                    // 000000004690: 92524752
	s_mul_i32 s61, s60, s61                                    // 000000004694: 923D3D3C
	s_add_u32 s82, s82, s61                                    // 000000004698: 80523D52
	v_mul_lo_u32 v6, v5, s82                                   // 00000000469C: D2850006 0000A505
	v_readlane_b32 s82, v3, 19                                 // 0000000046A4: D2890052 00012703
	s_lshr_b32 s61, s82, 24                                    // 0000000046AC: 8F3D9852
	s_and_b32 s82, s82, 0xffffff                               // 0000000046B0: 8652FF52 00FFFFFF
	s_mul_i32 s82, s82, s71                                    // 0000000046B8: 92524752
	s_mul_i32 s61, s60, s61                                    // 0000000046BC: 923D3D3C
	s_add_u32 s82, s82, s61                                    // 0000000046C0: 80523D52
	v_mul_lo_u32 v7, v4, s82                                   // 0000000046C4: D2850007 0000A504
	v_add_u32_e32 v57, v6, v7                                  // 0000000046CC: 68720F06
	v_and_b32_e32 v4, 31, v0                                   // 0000000046D0: 2608009F
	v_lshrrev_b32_e32 v4, 1, v4                                // 0000000046D4: 20080881
	s_cmp_eq_u32 s88, 0                                        // 0000000046D8: BF068058
	s_cselect_b32 s61, 2, 4                                    // 0000000046DC: 853D8482
	v_mul_lo_u32 v4, v4, s61                                   // 0000000046E0: D2850004 00007B04
	v_and_b32_e64 v5, v0, 1                                    // 0000000046E8: D1130005 00010300
	v_add_u32_e32 v4, v4, v5                                   // 0000000046F0: 68080B04
	v_lshlrev_b32_e32 v4, 2, v4                                // 0000000046F4: 24080882
	v_add_u32_e32 v48, v48, v4                                 // 0000000046F8: 68600930
	v_add_u32_e32 v49, v49, v4                                 // 0000000046FC: 68620931
	v_add_u32_e32 v50, v50, v4                                 // 000000004700: 68640932
	v_add_u32_e32 v51, v51, v4                                 // 000000004704: 68660933
	;; [unrolled: 1-line block ×3, first 2 shown]
	v_add_u32_e32 v53, v53, v4                                 // 00000000470C: 686A0935
	v_add_u32_e32 v54, v54, v4                                 // 000000004710: 686C0936
	v_add_u32_e32 v55, v55, v4                                 // 000000004714: 686E0937
	v_add_u32_e32 v56, v56, v4                                 // 000000004718: 68700938
	v_add_u32_e32 v57, v57, v4                                 // 00000000471C: 68720939
	s_waitcnt lgkmcnt(0)                                       // 000000004720: BF8CC07F
	s_barrier                                                  // 000000004724: BF8A0000
	ds_read_b32 v60, v21                                       // 000000004728: D86C0000 3C000015
	ds_read_b32 v61, v21 offset:64                             // 000000004730: D86C0040 3D000015
	ds_read_b32 v62, v21 offset:2176                           // 000000004738: D86C0880 3E000015
	ds_read_b32 v63, v21 offset:2240                           // 000000004740: D86C08C0 3F000015
	ds_read_b32 v64, v21 offset:4352                           // 000000004748: D86C1100 40000015
	ds_read_b32 v65, v21 offset:4416                           // 000000004750: D86C1140 41000015
	ds_read_b32 v66, v21 offset:6528                           // 000000004758: D86C1980 42000015
	ds_read_b32 v67, v21 offset:6592                           // 000000004760: D86C19C0 43000015
	ds_read_b32 v68, v21 offset:8704                           // 000000004768: D86C2200 44000015
	ds_read_b32 v69, v21 offset:8768                           // 000000004770: D86C2240 45000015
	s_waitcnt lgkmcnt(0)                                       // 000000004778: BF8CC07F
	s_mov_b32 s36, -1                                          // 00000000477C: BEA400C1
	s_mov_b32 s37, -1                                          // 000000004780: BEA500C1
	v_mov_b32_e32 v7, 0                                        // 000000004784: 7E0E0280
	s_or_b32 s9, s9, 0x40000                                   // 000000004788: 8709FF09 00040000
	s_mov_b64 exec, s[36:37]                                   // 000000004790: BEFE0124
	v_mov_b32_e32 v6, v48                                      // 000000004794: 7E0C0330
	s_mov_b64 s[60:61], 0                                      // 000000004798: BEBC0180
	v_readlane_b32 s82, v3, 0                                  // 00000000479C: D2890052 00010103
	s_and_b32 s82, s82, 0xffffff                               // 0000000047A4: 8652FF52 00FFFFFF
	s_cmp_lt_u32 s82, s66                                      // 0000000047AC: BF0A4252
	s_cselect_b32 s20, s36, s60                                // 0000000047B0: 85143C24
	v_readlane_b32 s82, v3, 1                                  // 0000000047B4: D2890052 00010303
	s_and_b32 s82, s82, 0xffffff                               // 0000000047BC: 8652FF52 00FFFFFF
	s_cmp_lt_u32 s82, s66                                      // 0000000047C4: BF0A4252
	s_cselect_b32 s21, s36, s60                                // 0000000047C8: 85153C24
	s_mov_b64 exec, s[20:21]                                   // 0000000047CC: BEFE0114
	buffer_store_dword v60, v6, s[8:11], 0 offen               // 0000000047D0: E0701000 80023C06
	s_mov_b64 exec, s[36:37]                                   // 0000000047D8: BEFE0124
	v_mov_b32_e32 v6, v49                                      // 0000000047DC: 7E0C0331
	s_mov_b64 s[60:61], 0                                      // 0000000047E0: BEBC0180
	v_readlane_b32 s82, v3, 2                                  // 0000000047E4: D2890052 00010503
	s_and_b32 s82, s82, 0xffffff                               // 0000000047EC: 8652FF52 00FFFFFF
	s_cmp_lt_u32 s82, s66                                      // 0000000047F4: BF0A4252
	s_cselect_b32 s20, s36, s60                                // 0000000047F8: 85143C24
	v_readlane_b32 s82, v3, 3                                  // 0000000047FC: D2890052 00010703
	s_and_b32 s82, s82, 0xffffff                               // 000000004804: 8652FF52 00FFFFFF
	s_cmp_lt_u32 s82, s66                                      // 00000000480C: BF0A4252
	s_cselect_b32 s21, s36, s60                                // 000000004810: 85153C24
	s_mov_b64 exec, s[20:21]                                   // 000000004814: BEFE0114
	buffer_store_dword v61, v6, s[8:11], 0 offen               // 000000004818: E0701000 80023D06
	s_mov_b64 exec, s[36:37]                                   // 000000004820: BEFE0124
	v_mov_b32_e32 v6, v50                                      // 000000004824: 7E0C0332
	s_mov_b64 s[60:61], 0                                      // 000000004828: BEBC0180
	v_readlane_b32 s82, v3, 4                                  // 00000000482C: D2890052 00010903
	s_and_b32 s82, s82, 0xffffff                               // 000000004834: 8652FF52 00FFFFFF
	s_cmp_lt_u32 s82, s66                                      // 00000000483C: BF0A4252
	s_cselect_b32 s20, s36, s60                                // 000000004840: 85143C24
	v_readlane_b32 s82, v3, 5                                  // 000000004844: D2890052 00010B03
	s_and_b32 s82, s82, 0xffffff                               // 00000000484C: 8652FF52 00FFFFFF
	s_cmp_lt_u32 s82, s66                                      // 000000004854: BF0A4252
	s_cselect_b32 s21, s36, s60                                // 000000004858: 85153C24
	s_mov_b64 exec, s[20:21]                                   // 00000000485C: BEFE0114
	buffer_store_dword v62, v6, s[8:11], 0 offen               // 000000004860: E0701000 80023E06
	s_mov_b64 exec, s[36:37]                                   // 000000004868: BEFE0124
	v_mov_b32_e32 v6, v51                                      // 00000000486C: 7E0C0333
	s_mov_b64 s[60:61], 0                                      // 000000004870: BEBC0180
	v_readlane_b32 s82, v3, 6                                  // 000000004874: D2890052 00010D03
	s_and_b32 s82, s82, 0xffffff                               // 00000000487C: 8652FF52 00FFFFFF
	s_cmp_lt_u32 s82, s66                                      // 000000004884: BF0A4252
	s_cselect_b32 s20, s36, s60                                // 000000004888: 85143C24
	v_readlane_b32 s82, v3, 7                                  // 00000000488C: D2890052 00010F03
	s_and_b32 s82, s82, 0xffffff                               // 000000004894: 8652FF52 00FFFFFF
	s_cmp_lt_u32 s82, s66                                      // 00000000489C: BF0A4252
	s_cselect_b32 s21, s36, s60                                // 0000000048A0: 85153C24
	s_mov_b64 exec, s[20:21]                                   // 0000000048A4: BEFE0114
	buffer_store_dword v63, v6, s[8:11], 0 offen               // 0000000048A8: E0701000 80023F06
	s_mov_b64 exec, s[36:37]                                   // 0000000048B0: BEFE0124
	v_mov_b32_e32 v6, v52                                      // 0000000048B4: 7E0C0334
	s_mov_b64 s[60:61], 0                                      // 0000000048B8: BEBC0180
	v_readlane_b32 s82, v3, 8                                  // 0000000048BC: D2890052 00011103
	s_and_b32 s82, s82, 0xffffff                               // 0000000048C4: 8652FF52 00FFFFFF
	s_cmp_lt_u32 s82, s66                                      // 0000000048CC: BF0A4252
	s_cselect_b32 s20, s36, s60                                // 0000000048D0: 85143C24
	v_readlane_b32 s82, v3, 9                                  // 0000000048D4: D2890052 00011303
	s_and_b32 s82, s82, 0xffffff                               // 0000000048DC: 8652FF52 00FFFFFF
	s_cmp_lt_u32 s82, s66                                      // 0000000048E4: BF0A4252
	s_cselect_b32 s21, s36, s60                                // 0000000048E8: 85153C24
	s_mov_b64 exec, s[20:21]                                   // 0000000048EC: BEFE0114
	buffer_store_dword v64, v6, s[8:11], 0 offen               // 0000000048F0: E0701000 80024006
	s_mov_b64 exec, s[36:37]                                   // 0000000048F8: BEFE0124
	v_mov_b32_e32 v6, v53                                      // 0000000048FC: 7E0C0335
	s_mov_b64 s[60:61], 0                                      // 000000004900: BEBC0180
	v_readlane_b32 s82, v3, 10                                 // 000000004904: D2890052 00011503
	s_and_b32 s82, s82, 0xffffff                               // 00000000490C: 8652FF52 00FFFFFF
	s_cmp_lt_u32 s82, s66                                      // 000000004914: BF0A4252
	s_cselect_b32 s20, s36, s60                                // 000000004918: 85143C24
	v_readlane_b32 s82, v3, 11                                 // 00000000491C: D2890052 00011703
	s_and_b32 s82, s82, 0xffffff                               // 000000004924: 8652FF52 00FFFFFF
	s_cmp_lt_u32 s82, s66                                      // 00000000492C: BF0A4252
	s_cselect_b32 s21, s36, s60                                // 000000004930: 85153C24
	s_mov_b64 exec, s[20:21]                                   // 000000004934: BEFE0114
	buffer_store_dword v65, v6, s[8:11], 0 offen               // 000000004938: E0701000 80024106
	s_mov_b64 exec, s[36:37]                                   // 000000004940: BEFE0124
	v_mov_b32_e32 v6, v54                                      // 000000004944: 7E0C0336
	s_mov_b64 s[60:61], 0                                      // 000000004948: BEBC0180
	v_readlane_b32 s82, v3, 12                                 // 00000000494C: D2890052 00011903
	s_and_b32 s82, s82, 0xffffff                               // 000000004954: 8652FF52 00FFFFFF
	s_cmp_lt_u32 s82, s66                                      // 00000000495C: BF0A4252
	s_cselect_b32 s20, s36, s60                                // 000000004960: 85143C24
	v_readlane_b32 s82, v3, 13                                 // 000000004964: D2890052 00011B03
	s_and_b32 s82, s82, 0xffffff                               // 00000000496C: 8652FF52 00FFFFFF
	s_cmp_lt_u32 s82, s66                                      // 000000004974: BF0A4252
	s_cselect_b32 s21, s36, s60                                // 000000004978: 85153C24
	s_mov_b64 exec, s[20:21]                                   // 00000000497C: BEFE0114
	buffer_store_dword v66, v6, s[8:11], 0 offen               // 000000004980: E0701000 80024206
	s_mov_b64 exec, s[36:37]                                   // 000000004988: BEFE0124
	v_mov_b32_e32 v6, v55                                      // 00000000498C: 7E0C0337
	s_mov_b64 s[60:61], 0                                      // 000000004990: BEBC0180
	v_readlane_b32 s82, v3, 14                                 // 000000004994: D2890052 00011D03
	s_and_b32 s82, s82, 0xffffff                               // 00000000499C: 8652FF52 00FFFFFF
	s_cmp_lt_u32 s82, s66                                      // 0000000049A4: BF0A4252
	s_cselect_b32 s20, s36, s60                                // 0000000049A8: 85143C24
	v_readlane_b32 s82, v3, 15                                 // 0000000049AC: D2890052 00011F03
	s_and_b32 s82, s82, 0xffffff                               // 0000000049B4: 8652FF52 00FFFFFF
	s_cmp_lt_u32 s82, s66                                      // 0000000049BC: BF0A4252
	s_cselect_b32 s21, s36, s60                                // 0000000049C0: 85153C24
	s_mov_b64 exec, s[20:21]                                   // 0000000049C4: BEFE0114
	buffer_store_dword v67, v6, s[8:11], 0 offen               // 0000000049C8: E0701000 80024306
	s_mov_b64 exec, s[36:37]                                   // 0000000049D0: BEFE0124
	v_mov_b32_e32 v6, v56                                      // 0000000049D4: 7E0C0338
	s_mov_b64 s[60:61], 0                                      // 0000000049D8: BEBC0180
	v_readlane_b32 s82, v3, 16                                 // 0000000049DC: D2890052 00012103
	s_and_b32 s82, s82, 0xffffff                               // 0000000049E4: 8652FF52 00FFFFFF
	s_cmp_lt_u32 s82, s66                                      // 0000000049EC: BF0A4252
	s_cselect_b32 s20, s36, s60                                // 0000000049F0: 85143C24
	v_readlane_b32 s82, v3, 17                                 // 0000000049F4: D2890052 00012303
	s_and_b32 s82, s82, 0xffffff                               // 0000000049FC: 8652FF52 00FFFFFF
	s_cmp_lt_u32 s82, s66                                      // 000000004A04: BF0A4252
	s_cselect_b32 s21, s36, s60                                // 000000004A08: 85153C24
	s_mov_b64 exec, s[20:21]                                   // 000000004A0C: BEFE0114
	buffer_store_dword v68, v6, s[8:11], 0 offen               // 000000004A10: E0701000 80024406
	s_mov_b64 exec, s[36:37]                                   // 000000004A18: BEFE0124
	v_mov_b32_e32 v6, v57                                      // 000000004A1C: 7E0C0339
	s_mov_b64 s[60:61], 0                                      // 000000004A20: BEBC0180
	v_readlane_b32 s82, v3, 18                                 // 000000004A24: D2890052 00012503
	s_and_b32 s82, s82, 0xffffff                               // 000000004A2C: 8652FF52 00FFFFFF
	s_cmp_lt_u32 s82, s66                                      // 000000004A34: BF0A4252
	s_cselect_b32 s20, s36, s60                                // 000000004A38: 85143C24
	v_readlane_b32 s82, v3, 19                                 // 000000004A3C: D2890052 00012703
	s_and_b32 s82, s82, 0xffffff                               // 000000004A44: 8652FF52 00FFFFFF
	s_cmp_lt_u32 s82, s66                                      // 000000004A4C: BF0A4252
	s_cselect_b32 s21, s36, s60                                // 000000004A50: 85153C24
	s_mov_b64 exec, s[20:21]                                   // 000000004A54: BEFE0114
	buffer_store_dword v69, v6, s[8:11], 0 offen               // 000000004A58: E0701000 80024506
	s_mov_b64 exec, s[36:37]                                   // 000000004A60: BEFE0124
	s_branch label_1657                                        // 000000004A64: BF820E3A

0000000000004a68 <label_081A>:
	ds_write_b64 v20, v[60:61]                                 // 000000004A68: D89A0000 00003C14
	ds_write_b64 v20, v[64:65] offset:2176                     // 000000004A70: D89A0880 00004014
	ds_write_b64 v20, v[68:69] offset:4352                     // 000000004A78: D89A1100 00004414
	ds_write_b64 v20, v[72:73] offset:6528                     // 000000004A80: D89A1980 00004814
	ds_write_b64 v20, v[76:77] offset:8704                     // 000000004A88: D89A2200 00004C14
	v_lshrrev_b32_e32 v4, 5, v0                                // 000000004A90: 20080085
	v_xor_b32_e32 v5, 1, v4                                    // 000000004A94: 2A0A0881
	s_mul_i32 s60, s65, 2                                      // 000000004A98: 923C8241
	s_cmp_eq_u32 s88, 0                                        // 000000004A9C: BF068058
	s_cselect_b32 s61, 1, 4                                    // 000000004AA0: 853D8481
	s_mul_i32 s60, s61, s60                                    // 000000004AA4: 923C3C3D
	v_readlane_b32 s82, v3, 0                                  // 000000004AA8: D2890052 00010103
	s_lshr_b32 s61, s82, 24                                    // 000000004AB0: 8F3D9852
	s_and_b32 s82, s82, 0xffffff                               // 000000004AB4: 8652FF52 00FFFFFF
	s_mul_i32 s82, s82, s71                                    // 000000004ABC: 92524752
	s_mul_i32 s61, s60, s61                                    // 000000004AC0: 923D3D3C
	s_add_u32 s82, s82, s61                                    // 000000004AC4: 80523D52
	v_mul_lo_u32 v6, v5, s82                                   // 000000004AC8: D2850006 0000A505
	v_readlane_b32 s82, v3, 1                                  // 000000004AD0: D2890052 00010303
	s_lshr_b32 s61, s82, 24                                    // 000000004AD8: 8F3D9852
	s_and_b32 s82, s82, 0xffffff                               // 000000004ADC: 8652FF52 00FFFFFF
	s_mul_i32 s82, s82, s71                                    // 000000004AE4: 92524752
	s_mul_i32 s61, s60, s61                                    // 000000004AE8: 923D3D3C
	s_add_u32 s82, s82, s61                                    // 000000004AEC: 80523D52
	v_mul_lo_u32 v7, v4, s82                                   // 000000004AF0: D2850007 0000A504
	v_add_u32_e32 v48, v6, v7                                  // 000000004AF8: 68600F06
	v_readlane_b32 s82, v3, 2                                  // 000000004AFC: D2890052 00010503
	s_lshr_b32 s61, s82, 24                                    // 000000004B04: 8F3D9852
	s_and_b32 s82, s82, 0xffffff                               // 000000004B08: 8652FF52 00FFFFFF
	s_mul_i32 s82, s82, s71                                    // 000000004B10: 92524752
	s_mul_i32 s61, s60, s61                                    // 000000004B14: 923D3D3C
	s_add_u32 s82, s82, s61                                    // 000000004B18: 80523D52
	v_mul_lo_u32 v6, v5, s82                                   // 000000004B1C: D2850006 0000A505
	v_readlane_b32 s82, v3, 3                                  // 000000004B24: D2890052 00010703
	s_lshr_b32 s61, s82, 24                                    // 000000004B2C: 8F3D9852
	s_and_b32 s82, s82, 0xffffff                               // 000000004B30: 8652FF52 00FFFFFF
	s_mul_i32 s82, s82, s71                                    // 000000004B38: 92524752
	s_mul_i32 s61, s60, s61                                    // 000000004B3C: 923D3D3C
	s_add_u32 s82, s82, s61                                    // 000000004B40: 80523D52
	v_mul_lo_u32 v7, v4, s82                                   // 000000004B44: D2850007 0000A504
	v_add_u32_e32 v49, v6, v7                                  // 000000004B4C: 68620F06
	v_readlane_b32 s82, v3, 4                                  // 000000004B50: D2890052 00010903
	s_lshr_b32 s61, s82, 24                                    // 000000004B58: 8F3D9852
	s_and_b32 s82, s82, 0xffffff                               // 000000004B5C: 8652FF52 00FFFFFF
	s_mul_i32 s82, s82, s71                                    // 000000004B64: 92524752
	s_mul_i32 s61, s60, s61                                    // 000000004B68: 923D3D3C
	s_add_u32 s82, s82, s61                                    // 000000004B6C: 80523D52
	v_mul_lo_u32 v6, v5, s82                                   // 000000004B70: D2850006 0000A505
	v_readlane_b32 s82, v3, 5                                  // 000000004B78: D2890052 00010B03
	s_lshr_b32 s61, s82, 24                                    // 000000004B80: 8F3D9852
	s_and_b32 s82, s82, 0xffffff                               // 000000004B84: 8652FF52 00FFFFFF
	s_mul_i32 s82, s82, s71                                    // 000000004B8C: 92524752
	s_mul_i32 s61, s60, s61                                    // 000000004B90: 923D3D3C
	s_add_u32 s82, s82, s61                                    // 000000004B94: 80523D52
	v_mul_lo_u32 v7, v4, s82                                   // 000000004B98: D2850007 0000A504
	v_add_u32_e32 v50, v6, v7                                  // 000000004BA0: 68640F06
	v_readlane_b32 s82, v3, 6                                  // 000000004BA4: D2890052 00010D03
	s_lshr_b32 s61, s82, 24                                    // 000000004BAC: 8F3D9852
	s_and_b32 s82, s82, 0xffffff                               // 000000004BB0: 8652FF52 00FFFFFF
	s_mul_i32 s82, s82, s71                                    // 000000004BB8: 92524752
	s_mul_i32 s61, s60, s61                                    // 000000004BBC: 923D3D3C
	s_add_u32 s82, s82, s61                                    // 000000004BC0: 80523D52
	v_mul_lo_u32 v6, v5, s82                                   // 000000004BC4: D2850006 0000A505
	v_readlane_b32 s82, v3, 7                                  // 000000004BCC: D2890052 00010F03
	s_lshr_b32 s61, s82, 24                                    // 000000004BD4: 8F3D9852
	s_and_b32 s82, s82, 0xffffff                               // 000000004BD8: 8652FF52 00FFFFFF
	s_mul_i32 s82, s82, s71                                    // 000000004BE0: 92524752
	s_mul_i32 s61, s60, s61                                    // 000000004BE4: 923D3D3C
	s_add_u32 s82, s82, s61                                    // 000000004BE8: 80523D52
	v_mul_lo_u32 v7, v4, s82                                   // 000000004BEC: D2850007 0000A504
	v_add_u32_e32 v51, v6, v7                                  // 000000004BF4: 68660F06
	v_readlane_b32 s82, v3, 8                                  // 000000004BF8: D2890052 00011103
	s_lshr_b32 s61, s82, 24                                    // 000000004C00: 8F3D9852
	s_and_b32 s82, s82, 0xffffff                               // 000000004C04: 8652FF52 00FFFFFF
	s_mul_i32 s82, s82, s71                                    // 000000004C0C: 92524752
	s_mul_i32 s61, s60, s61                                    // 000000004C10: 923D3D3C
	s_add_u32 s82, s82, s61                                    // 000000004C14: 80523D52
	v_mul_lo_u32 v6, v5, s82                                   // 000000004C18: D2850006 0000A505
	v_readlane_b32 s82, v3, 9                                  // 000000004C20: D2890052 00011303
	s_lshr_b32 s61, s82, 24                                    // 000000004C28: 8F3D9852
	s_and_b32 s82, s82, 0xffffff                               // 000000004C2C: 8652FF52 00FFFFFF
	s_mul_i32 s82, s82, s71                                    // 000000004C34: 92524752
	s_mul_i32 s61, s60, s61                                    // 000000004C38: 923D3D3C
	s_add_u32 s82, s82, s61                                    // 000000004C3C: 80523D52
	v_mul_lo_u32 v7, v4, s82                                   // 000000004C40: D2850007 0000A504
	v_add_u32_e32 v52, v6, v7                                  // 000000004C48: 68680F06
	v_readlane_b32 s82, v3, 10                                 // 000000004C4C: D2890052 00011503
	s_lshr_b32 s61, s82, 24                                    // 000000004C54: 8F3D9852
	s_and_b32 s82, s82, 0xffffff                               // 000000004C58: 8652FF52 00FFFFFF
	s_mul_i32 s82, s82, s71                                    // 000000004C60: 92524752
	s_mul_i32 s61, s60, s61                                    // 000000004C64: 923D3D3C
	s_add_u32 s82, s82, s61                                    // 000000004C68: 80523D52
	v_mul_lo_u32 v6, v5, s82                                   // 000000004C6C: D2850006 0000A505
	v_readlane_b32 s82, v3, 11                                 // 000000004C74: D2890052 00011703
	s_lshr_b32 s61, s82, 24                                    // 000000004C7C: 8F3D9852
	s_and_b32 s82, s82, 0xffffff                               // 000000004C80: 8652FF52 00FFFFFF
	s_mul_i32 s82, s82, s71                                    // 000000004C88: 92524752
	s_mul_i32 s61, s60, s61                                    // 000000004C8C: 923D3D3C
	s_add_u32 s82, s82, s61                                    // 000000004C90: 80523D52
	v_mul_lo_u32 v7, v4, s82                                   // 000000004C94: D2850007 0000A504
	v_add_u32_e32 v53, v6, v7                                  // 000000004C9C: 686A0F06
	v_readlane_b32 s82, v3, 12                                 // 000000004CA0: D2890052 00011903
	s_lshr_b32 s61, s82, 24                                    // 000000004CA8: 8F3D9852
	s_and_b32 s82, s82, 0xffffff                               // 000000004CAC: 8652FF52 00FFFFFF
	s_mul_i32 s82, s82, s71                                    // 000000004CB4: 92524752
	s_mul_i32 s61, s60, s61                                    // 000000004CB8: 923D3D3C
	s_add_u32 s82, s82, s61                                    // 000000004CBC: 80523D52
	v_mul_lo_u32 v6, v5, s82                                   // 000000004CC0: D2850006 0000A505
	v_readlane_b32 s82, v3, 13                                 // 000000004CC8: D2890052 00011B03
	s_lshr_b32 s61, s82, 24                                    // 000000004CD0: 8F3D9852
	s_and_b32 s82, s82, 0xffffff                               // 000000004CD4: 8652FF52 00FFFFFF
	s_mul_i32 s82, s82, s71                                    // 000000004CDC: 92524752
	s_mul_i32 s61, s60, s61                                    // 000000004CE0: 923D3D3C
	s_add_u32 s82, s82, s61                                    // 000000004CE4: 80523D52
	v_mul_lo_u32 v7, v4, s82                                   // 000000004CE8: D2850007 0000A504
	v_add_u32_e32 v54, v6, v7                                  // 000000004CF0: 686C0F06
	v_readlane_b32 s82, v3, 14                                 // 000000004CF4: D2890052 00011D03
	s_lshr_b32 s61, s82, 24                                    // 000000004CFC: 8F3D9852
	s_and_b32 s82, s82, 0xffffff                               // 000000004D00: 8652FF52 00FFFFFF
	s_mul_i32 s82, s82, s71                                    // 000000004D08: 92524752
	s_mul_i32 s61, s60, s61                                    // 000000004D0C: 923D3D3C
	s_add_u32 s82, s82, s61                                    // 000000004D10: 80523D52
	v_mul_lo_u32 v6, v5, s82                                   // 000000004D14: D2850006 0000A505
	v_readlane_b32 s82, v3, 15                                 // 000000004D1C: D2890052 00011F03
	s_lshr_b32 s61, s82, 24                                    // 000000004D24: 8F3D9852
	s_and_b32 s82, s82, 0xffffff                               // 000000004D28: 8652FF52 00FFFFFF
	s_mul_i32 s82, s82, s71                                    // 000000004D30: 92524752
	s_mul_i32 s61, s60, s61                                    // 000000004D34: 923D3D3C
	s_add_u32 s82, s82, s61                                    // 000000004D38: 80523D52
	v_mul_lo_u32 v7, v4, s82                                   // 000000004D3C: D2850007 0000A504
	v_add_u32_e32 v55, v6, v7                                  // 000000004D44: 686E0F06
	v_readlane_b32 s82, v3, 16                                 // 000000004D48: D2890052 00012103
	s_lshr_b32 s61, s82, 24                                    // 000000004D50: 8F3D9852
	s_and_b32 s82, s82, 0xffffff                               // 000000004D54: 8652FF52 00FFFFFF
	s_mul_i32 s82, s82, s71                                    // 000000004D5C: 92524752
	s_mul_i32 s61, s60, s61                                    // 000000004D60: 923D3D3C
	s_add_u32 s82, s82, s61                                    // 000000004D64: 80523D52
	v_mul_lo_u32 v6, v5, s82                                   // 000000004D68: D2850006 0000A505
	v_readlane_b32 s82, v3, 17                                 // 000000004D70: D2890052 00012303
	s_lshr_b32 s61, s82, 24                                    // 000000004D78: 8F3D9852
	s_and_b32 s82, s82, 0xffffff                               // 000000004D7C: 8652FF52 00FFFFFF
	s_mul_i32 s82, s82, s71                                    // 000000004D84: 92524752
	s_mul_i32 s61, s60, s61                                    // 000000004D88: 923D3D3C
	s_add_u32 s82, s82, s61                                    // 000000004D8C: 80523D52
	v_mul_lo_u32 v7, v4, s82                                   // 000000004D90: D2850007 0000A504
	v_add_u32_e32 v56, v6, v7                                  // 000000004D98: 68700F06
	v_readlane_b32 s82, v3, 18                                 // 000000004D9C: D2890052 00012503
	s_lshr_b32 s61, s82, 24                                    // 000000004DA4: 8F3D9852
	s_and_b32 s82, s82, 0xffffff                               // 000000004DA8: 8652FF52 00FFFFFF
	s_mul_i32 s82, s82, s71                                    // 000000004DB0: 92524752
	s_mul_i32 s61, s60, s61                                    // 000000004DB4: 923D3D3C
	s_add_u32 s82, s82, s61                                    // 000000004DB8: 80523D52
	v_mul_lo_u32 v6, v5, s82                                   // 000000004DBC: D2850006 0000A505
	v_readlane_b32 s82, v3, 19                                 // 000000004DC4: D2890052 00012703
	s_lshr_b32 s61, s82, 24                                    // 000000004DCC: 8F3D9852
	s_and_b32 s82, s82, 0xffffff                               // 000000004DD0: 8652FF52 00FFFFFF
	s_mul_i32 s82, s82, s71                                    // 000000004DD8: 92524752
	s_mul_i32 s61, s60, s61                                    // 000000004DDC: 923D3D3C
	s_add_u32 s82, s82, s61                                    // 000000004DE0: 80523D52
	v_mul_lo_u32 v7, v4, s82                                   // 000000004DE4: D2850007 0000A504
	v_add_u32_e32 v57, v6, v7                                  // 000000004DEC: 68720F06
	v_and_b32_e32 v4, 31, v0                                   // 000000004DF0: 2608009F
	v_lshrrev_b32_e32 v4, 1, v4                                // 000000004DF4: 20080881
	s_cmp_eq_u32 s88, 0                                        // 000000004DF8: BF068058
	s_cselect_b32 s61, 2, 4                                    // 000000004DFC: 853D8482
	v_mul_lo_u32 v4, v4, s61                                   // 000000004E00: D2850004 00007B04
	v_and_b32_e64 v5, v0, 1                                    // 000000004E08: D1130005 00010300
	v_add_u32_e32 v4, v4, v5                                   // 000000004E10: 68080B04
	v_lshlrev_b32_e32 v4, 2, v4                                // 000000004E14: 24080882
	v_add_u32_e32 v48, v48, v4                                 // 000000004E18: 68600930
	v_add_u32_e32 v49, v49, v4                                 // 000000004E1C: 68620931
	v_add_u32_e32 v50, v50, v4                                 // 000000004E20: 68640932
	v_add_u32_e32 v51, v51, v4                                 // 000000004E24: 68660933
	v_add_u32_e32 v52, v52, v4                                 // 000000004E28: 68680934
	v_add_u32_e32 v53, v53, v4                                 // 000000004E2C: 686A0935
	v_add_u32_e32 v54, v54, v4                                 // 000000004E30: 686C0936
	v_add_u32_e32 v55, v55, v4                                 // 000000004E34: 686E0937
	v_add_u32_e32 v56, v56, v4                                 // 000000004E38: 68700938
	v_add_u32_e32 v57, v57, v4                                 // 000000004E3C: 68720939
	s_waitcnt lgkmcnt(0)                                       // 000000004E40: BF8CC07F
	s_barrier                                                  // 000000004E44: BF8A0000
	ds_read_b32 v60, v21                                       // 000000004E48: D86C0000 3C000015
	ds_read_b32 v61, v21 offset:64                             // 000000004E50: D86C0040 3D000015
	ds_read_b32 v64, v21 offset:2176                           // 000000004E58: D86C0880 40000015
	ds_read_b32 v65, v21 offset:2240                           // 000000004E60: D86C08C0 41000015
	ds_read_b32 v68, v21 offset:4352                           // 000000004E68: D86C1100 44000015
	ds_read_b32 v69, v21 offset:4416                           // 000000004E70: D86C1140 45000015
	ds_read_b32 v72, v21 offset:6528                           // 000000004E78: D86C1980 48000015
	ds_read_b32 v73, v21 offset:6592                           // 000000004E80: D86C19C0 49000015
	ds_read_b32 v76, v21 offset:8704                           // 000000004E88: D86C2200 4C000015
	ds_read_b32 v77, v21 offset:8768                           // 000000004E90: D86C2240 4D000015
	s_waitcnt lgkmcnt(0)                                       // 000000004E98: BF8CC07F
	s_mov_b32 s36, -1                                          // 000000004E9C: BEA400C1
	s_mov_b32 s37, -1                                          // 000000004EA0: BEA500C1
	v_mov_b32_e32 v7, 0                                        // 000000004EA4: 7E0E0280
	s_mov_b64 exec, s[36:37]                                   // 000000004EA8: BEFE0124
	v_mov_b32_e32 v6, v48                                      // 000000004EAC: 7E0C0330
	s_mov_b64 s[60:61], 0                                      // 000000004EB0: BEBC0180
	v_readlane_b32 s82, v3, 0                                  // 000000004EB4: D2890052 00010103
	s_and_b32 s82, s82, 0xffffff                               // 000000004EBC: 8652FF52 00FFFFFF
	s_cmp_lt_u32 s82, s66                                      // 000000004EC4: BF0A4252
	s_cselect_b32 s20, s36, s60                                // 000000004EC8: 85143C24
	v_readlane_b32 s82, v3, 1                                  // 000000004ECC: D2890052 00010303
	s_and_b32 s82, s82, 0xffffff                               // 000000004ED4: 8652FF52 00FFFFFF
	s_cmp_lt_u32 s82, s66                                      // 000000004EDC: BF0A4252
	s_cselect_b32 s21, s36, s60                                // 000000004EE0: 85153C24
	s_mov_b64 exec, s[20:21]                                   // 000000004EE4: BEFE0114
	global_atomic_add_f32 v6, v60, s[8:9]                      // 000000004EE8: DD348000 00083C06
	s_mov_b64 exec, s[36:37]                                   // 000000004EF0: BEFE0124
	v_mov_b32_e32 v6, v49                                      // 000000004EF4: 7E0C0331
	s_mov_b64 s[60:61], 0                                      // 000000004EF8: BEBC0180
	v_readlane_b32 s82, v3, 2                                  // 000000004EFC: D2890052 00010503
	s_and_b32 s82, s82, 0xffffff                               // 000000004F04: 8652FF52 00FFFFFF
	s_cmp_lt_u32 s82, s66                                      // 000000004F0C: BF0A4252
	s_cselect_b32 s20, s36, s60                                // 000000004F10: 85143C24
	v_readlane_b32 s82, v3, 3                                  // 000000004F14: D2890052 00010703
	s_and_b32 s82, s82, 0xffffff                               // 000000004F1C: 8652FF52 00FFFFFF
	s_cmp_lt_u32 s82, s66                                      // 000000004F24: BF0A4252
	s_cselect_b32 s21, s36, s60                                // 000000004F28: 85153C24
	s_mov_b64 exec, s[20:21]                                   // 000000004F2C: BEFE0114
	global_atomic_add_f32 v6, v61, s[8:9]                      // 000000004F30: DD348000 00083D06
	s_mov_b64 exec, s[36:37]                                   // 000000004F38: BEFE0124
	v_mov_b32_e32 v6, v50                                      // 000000004F3C: 7E0C0332
	s_mov_b64 s[60:61], 0                                      // 000000004F40: BEBC0180
	v_readlane_b32 s82, v3, 4                                  // 000000004F44: D2890052 00010903
	s_and_b32 s82, s82, 0xffffff                               // 000000004F4C: 8652FF52 00FFFFFF
	s_cmp_lt_u32 s82, s66                                      // 000000004F54: BF0A4252
	s_cselect_b32 s20, s36, s60                                // 000000004F58: 85143C24
	v_readlane_b32 s82, v3, 5                                  // 000000004F5C: D2890052 00010B03
	s_and_b32 s82, s82, 0xffffff                               // 000000004F64: 8652FF52 00FFFFFF
	s_cmp_lt_u32 s82, s66                                      // 000000004F6C: BF0A4252
	s_cselect_b32 s21, s36, s60                                // 000000004F70: 85153C24
	s_mov_b64 exec, s[20:21]                                   // 000000004F74: BEFE0114
	global_atomic_add_f32 v6, v64, s[8:9]                      // 000000004F78: DD348000 00084006
	s_mov_b64 exec, s[36:37]                                   // 000000004F80: BEFE0124
	v_mov_b32_e32 v6, v51                                      // 000000004F84: 7E0C0333
	s_mov_b64 s[60:61], 0                                      // 000000004F88: BEBC0180
	v_readlane_b32 s82, v3, 6                                  // 000000004F8C: D2890052 00010D03
	s_and_b32 s82, s82, 0xffffff                               // 000000004F94: 8652FF52 00FFFFFF
	s_cmp_lt_u32 s82, s66                                      // 000000004F9C: BF0A4252
	s_cselect_b32 s20, s36, s60                                // 000000004FA0: 85143C24
	v_readlane_b32 s82, v3, 7                                  // 000000004FA4: D2890052 00010F03
	s_and_b32 s82, s82, 0xffffff                               // 000000004FAC: 8652FF52 00FFFFFF
	s_cmp_lt_u32 s82, s66                                      // 000000004FB4: BF0A4252
	s_cselect_b32 s21, s36, s60                                // 000000004FB8: 85153C24
	s_mov_b64 exec, s[20:21]                                   // 000000004FBC: BEFE0114
	global_atomic_add_f32 v6, v65, s[8:9]                      // 000000004FC0: DD348000 00084106
	s_mov_b64 exec, s[36:37]                                   // 000000004FC8: BEFE0124
	v_mov_b32_e32 v6, v52                                      // 000000004FCC: 7E0C0334
	s_mov_b64 s[60:61], 0                                      // 000000004FD0: BEBC0180
	v_readlane_b32 s82, v3, 8                                  // 000000004FD4: D2890052 00011103
	s_and_b32 s82, s82, 0xffffff                               // 000000004FDC: 8652FF52 00FFFFFF
	s_cmp_lt_u32 s82, s66                                      // 000000004FE4: BF0A4252
	s_cselect_b32 s20, s36, s60                                // 000000004FE8: 85143C24
	v_readlane_b32 s82, v3, 9                                  // 000000004FEC: D2890052 00011303
	s_and_b32 s82, s82, 0xffffff                               // 000000004FF4: 8652FF52 00FFFFFF
	s_cmp_lt_u32 s82, s66                                      // 000000004FFC: BF0A4252
	s_cselect_b32 s21, s36, s60                                // 000000005000: 85153C24
	s_mov_b64 exec, s[20:21]                                   // 000000005004: BEFE0114
	global_atomic_add_f32 v6, v68, s[8:9]                      // 000000005008: DD348000 00084406
	s_mov_b64 exec, s[36:37]                                   // 000000005010: BEFE0124
	v_mov_b32_e32 v6, v53                                      // 000000005014: 7E0C0335
	s_mov_b64 s[60:61], 0                                      // 000000005018: BEBC0180
	v_readlane_b32 s82, v3, 10                                 // 00000000501C: D2890052 00011503
	s_and_b32 s82, s82, 0xffffff                               // 000000005024: 8652FF52 00FFFFFF
	s_cmp_lt_u32 s82, s66                                      // 00000000502C: BF0A4252
	s_cselect_b32 s20, s36, s60                                // 000000005030: 85143C24
	v_readlane_b32 s82, v3, 11                                 // 000000005034: D2890052 00011703
	s_and_b32 s82, s82, 0xffffff                               // 00000000503C: 8652FF52 00FFFFFF
	s_cmp_lt_u32 s82, s66                                      // 000000005044: BF0A4252
	s_cselect_b32 s21, s36, s60                                // 000000005048: 85153C24
	s_mov_b64 exec, s[20:21]                                   // 00000000504C: BEFE0114
	global_atomic_add_f32 v6, v69, s[8:9]                      // 000000005050: DD348000 00084506
	s_mov_b64 exec, s[36:37]                                   // 000000005058: BEFE0124
	v_mov_b32_e32 v6, v54                                      // 00000000505C: 7E0C0336
	s_mov_b64 s[60:61], 0                                      // 000000005060: BEBC0180
	v_readlane_b32 s82, v3, 12                                 // 000000005064: D2890052 00011903
	s_and_b32 s82, s82, 0xffffff                               // 00000000506C: 8652FF52 00FFFFFF
	s_cmp_lt_u32 s82, s66                                      // 000000005074: BF0A4252
	s_cselect_b32 s20, s36, s60                                // 000000005078: 85143C24
	v_readlane_b32 s82, v3, 13                                 // 00000000507C: D2890052 00011B03
	s_and_b32 s82, s82, 0xffffff                               // 000000005084: 8652FF52 00FFFFFF
	s_cmp_lt_u32 s82, s66                                      // 00000000508C: BF0A4252
	s_cselect_b32 s21, s36, s60                                // 000000005090: 85153C24
	s_mov_b64 exec, s[20:21]                                   // 000000005094: BEFE0114
	global_atomic_add_f32 v6, v72, s[8:9]                      // 000000005098: DD348000 00084806
	s_mov_b64 exec, s[36:37]                                   // 0000000050A0: BEFE0124
	v_mov_b32_e32 v6, v55                                      // 0000000050A4: 7E0C0337
	s_mov_b64 s[60:61], 0                                      // 0000000050A8: BEBC0180
	v_readlane_b32 s82, v3, 14                                 // 0000000050AC: D2890052 00011D03
	s_and_b32 s82, s82, 0xffffff                               // 0000000050B4: 8652FF52 00FFFFFF
	s_cmp_lt_u32 s82, s66                                      // 0000000050BC: BF0A4252
	s_cselect_b32 s20, s36, s60                                // 0000000050C0: 85143C24
	v_readlane_b32 s82, v3, 15                                 // 0000000050C4: D2890052 00011F03
	s_and_b32 s82, s82, 0xffffff                               // 0000000050CC: 8652FF52 00FFFFFF
	s_cmp_lt_u32 s82, s66                                      // 0000000050D4: BF0A4252
	s_cselect_b32 s21, s36, s60                                // 0000000050D8: 85153C24
	s_mov_b64 exec, s[20:21]                                   // 0000000050DC: BEFE0114
	global_atomic_add_f32 v6, v73, s[8:9]                      // 0000000050E0: DD348000 00084906
	s_mov_b64 exec, s[36:37]                                   // 0000000050E8: BEFE0124
	v_mov_b32_e32 v6, v56                                      // 0000000050EC: 7E0C0338
	s_mov_b64 s[60:61], 0                                      // 0000000050F0: BEBC0180
	v_readlane_b32 s82, v3, 16                                 // 0000000050F4: D2890052 00012103
	s_and_b32 s82, s82, 0xffffff                               // 0000000050FC: 8652FF52 00FFFFFF
	s_cmp_lt_u32 s82, s66                                      // 000000005104: BF0A4252
	s_cselect_b32 s20, s36, s60                                // 000000005108: 85143C24
	v_readlane_b32 s82, v3, 17                                 // 00000000510C: D2890052 00012303
	s_and_b32 s82, s82, 0xffffff                               // 000000005114: 8652FF52 00FFFFFF
	s_cmp_lt_u32 s82, s66                                      // 00000000511C: BF0A4252
	s_cselect_b32 s21, s36, s60                                // 000000005120: 85153C24
	s_mov_b64 exec, s[20:21]                                   // 000000005124: BEFE0114
	global_atomic_add_f32 v6, v76, s[8:9]                      // 000000005128: DD348000 00084C06
	s_mov_b64 exec, s[36:37]                                   // 000000005130: BEFE0124
	v_mov_b32_e32 v6, v57                                      // 000000005134: 7E0C0339
	s_mov_b64 s[60:61], 0                                      // 000000005138: BEBC0180
	v_readlane_b32 s82, v3, 18                                 // 00000000513C: D2890052 00012503
	s_and_b32 s82, s82, 0xffffff                               // 000000005144: 8652FF52 00FFFFFF
	s_cmp_lt_u32 s82, s66                                      // 00000000514C: BF0A4252
	s_cselect_b32 s20, s36, s60                                // 000000005150: 85143C24
	v_readlane_b32 s82, v3, 19                                 // 000000005154: D2890052 00012703
	s_and_b32 s82, s82, 0xffffff                               // 00000000515C: 8652FF52 00FFFFFF
	s_cmp_lt_u32 s82, s66                                      // 000000005164: BF0A4252
	s_cselect_b32 s21, s36, s60                                // 000000005168: 85153C24
	s_mov_b64 exec, s[20:21]                                   // 00000000516C: BEFE0114
	global_atomic_add_f32 v6, v77, s[8:9]                      // 000000005170: DD348000 00084D06
	s_mov_b64 exec, s[36:37]                                   // 000000005178: BEFE0124
	ds_write_b64 v20, v[62:63]                                 // 00000000517C: D89A0000 00003E14
	ds_write_b64 v20, v[66:67] offset:2176                     // 000000005184: D89A0880 00004214
	ds_write_b64 v20, v[70:71] offset:4352                     // 00000000518C: D89A1100 00004614
	ds_write_b64 v20, v[74:75] offset:6528                     // 000000005194: D89A1980 00004A14
	ds_write_b64 v20, v[78:79] offset:8704                     // 00000000519C: D89A2200 00004E14
	s_waitcnt lgkmcnt(0)                                       // 0000000051A4: BF8CC07F
	s_barrier                                                  // 0000000051A8: BF8A0000
	ds_read_b32 v62, v21                                       // 0000000051AC: D86C0000 3E000015
	ds_read_b32 v63, v21 offset:64                             // 0000000051B4: D86C0040 3F000015
	ds_read_b32 v66, v21 offset:2176                           // 0000000051BC: D86C0880 42000015
	ds_read_b32 v67, v21 offset:2240                           // 0000000051C4: D86C08C0 43000015
	ds_read_b32 v70, v21 offset:4352                           // 0000000051CC: D86C1100 46000015
	ds_read_b32 v71, v21 offset:4416                           // 0000000051D4: D86C1140 47000015
	ds_read_b32 v74, v21 offset:6528                           // 0000000051DC: D86C1980 4A000015
	ds_read_b32 v75, v21 offset:6592                           // 0000000051E4: D86C19C0 4B000015
	ds_read_b32 v78, v21 offset:8704                           // 0000000051EC: D86C2200 4E000015
	ds_read_b32 v79, v21 offset:8768                           // 0000000051F4: D86C2240 4F000015
	s_waitcnt lgkmcnt(0)                                       // 0000000051FC: BF8CC07F
	v_mov_b32_e32 v7, 0                                        // 000000005200: 7E0E0280
	s_mov_b64 exec, s[36:37]                                   // 000000005204: BEFE0124
	v_mov_b32_e32 v6, v48                                      // 000000005208: 7E0C0330
	s_mov_b64 s[60:61], 0                                      // 00000000520C: BEBC0180
	v_readlane_b32 s82, v3, 0                                  // 000000005210: D2890052 00010103
	s_and_b32 s82, s82, 0xffffff                               // 000000005218: 8652FF52 00FFFFFF
	s_cmp_lt_u32 s82, s66                                      // 000000005220: BF0A4252
	s_cselect_b32 s20, s36, s60                                // 000000005224: 85143C24
	v_readlane_b32 s82, v3, 1                                  // 000000005228: D2890052 00010303
	s_and_b32 s82, s82, 0xffffff                               // 000000005230: 8652FF52 00FFFFFF
	s_cmp_lt_u32 s82, s66                                      // 000000005238: BF0A4252
	s_cselect_b32 s21, s36, s60                                // 00000000523C: 85153C24
	s_mov_b64 exec, s[20:21]                                   // 000000005240: BEFE0114
	global_atomic_add_f32 v6, v62, s[8:9] offset:8             // 000000005244: DD348008 00083E06
	s_mov_b64 exec, s[36:37]                                   // 00000000524C: BEFE0124
	v_mov_b32_e32 v6, v49                                      // 000000005250: 7E0C0331
	s_mov_b64 s[60:61], 0                                      // 000000005254: BEBC0180
	v_readlane_b32 s82, v3, 2                                  // 000000005258: D2890052 00010503
	s_and_b32 s82, s82, 0xffffff                               // 000000005260: 8652FF52 00FFFFFF
	s_cmp_lt_u32 s82, s66                                      // 000000005268: BF0A4252
	s_cselect_b32 s20, s36, s60                                // 00000000526C: 85143C24
	v_readlane_b32 s82, v3, 3                                  // 000000005270: D2890052 00010703
	s_and_b32 s82, s82, 0xffffff                               // 000000005278: 8652FF52 00FFFFFF
	s_cmp_lt_u32 s82, s66                                      // 000000005280: BF0A4252
	s_cselect_b32 s21, s36, s60                                // 000000005284: 85153C24
	s_mov_b64 exec, s[20:21]                                   // 000000005288: BEFE0114
	global_atomic_add_f32 v6, v63, s[8:9] offset:8             // 00000000528C: DD348008 00083F06
	s_mov_b64 exec, s[36:37]                                   // 000000005294: BEFE0124
	v_mov_b32_e32 v6, v50                                      // 000000005298: 7E0C0332
	s_mov_b64 s[60:61], 0                                      // 00000000529C: BEBC0180
	v_readlane_b32 s82, v3, 4                                  // 0000000052A0: D2890052 00010903
	s_and_b32 s82, s82, 0xffffff                               // 0000000052A8: 8652FF52 00FFFFFF
	s_cmp_lt_u32 s82, s66                                      // 0000000052B0: BF0A4252
	s_cselect_b32 s20, s36, s60                                // 0000000052B4: 85143C24
	v_readlane_b32 s82, v3, 5                                  // 0000000052B8: D2890052 00010B03
	s_and_b32 s82, s82, 0xffffff                               // 0000000052C0: 8652FF52 00FFFFFF
	s_cmp_lt_u32 s82, s66                                      // 0000000052C8: BF0A4252
	s_cselect_b32 s21, s36, s60                                // 0000000052CC: 85153C24
	s_mov_b64 exec, s[20:21]                                   // 0000000052D0: BEFE0114
	global_atomic_add_f32 v6, v66, s[8:9] offset:8             // 0000000052D4: DD348008 00084206
	s_mov_b64 exec, s[36:37]                                   // 0000000052DC: BEFE0124
	v_mov_b32_e32 v6, v51                                      // 0000000052E0: 7E0C0333
	s_mov_b64 s[60:61], 0                                      // 0000000052E4: BEBC0180
	v_readlane_b32 s82, v3, 6                                  // 0000000052E8: D2890052 00010D03
	s_and_b32 s82, s82, 0xffffff                               // 0000000052F0: 8652FF52 00FFFFFF
	s_cmp_lt_u32 s82, s66                                      // 0000000052F8: BF0A4252
	s_cselect_b32 s20, s36, s60                                // 0000000052FC: 85143C24
	v_readlane_b32 s82, v3, 7                                  // 000000005300: D2890052 00010F03
	s_and_b32 s82, s82, 0xffffff                               // 000000005308: 8652FF52 00FFFFFF
	s_cmp_lt_u32 s82, s66                                      // 000000005310: BF0A4252
	s_cselect_b32 s21, s36, s60                                // 000000005314: 85153C24
	s_mov_b64 exec, s[20:21]                                   // 000000005318: BEFE0114
	global_atomic_add_f32 v6, v67, s[8:9] offset:8             // 00000000531C: DD348008 00084306
	s_mov_b64 exec, s[36:37]                                   // 000000005324: BEFE0124
	v_mov_b32_e32 v6, v52                                      // 000000005328: 7E0C0334
	s_mov_b64 s[60:61], 0                                      // 00000000532C: BEBC0180
	v_readlane_b32 s82, v3, 8                                  // 000000005330: D2890052 00011103
	s_and_b32 s82, s82, 0xffffff                               // 000000005338: 8652FF52 00FFFFFF
	s_cmp_lt_u32 s82, s66                                      // 000000005340: BF0A4252
	s_cselect_b32 s20, s36, s60                                // 000000005344: 85143C24
	v_readlane_b32 s82, v3, 9                                  // 000000005348: D2890052 00011303
	s_and_b32 s82, s82, 0xffffff                               // 000000005350: 8652FF52 00FFFFFF
	s_cmp_lt_u32 s82, s66                                      // 000000005358: BF0A4252
	s_cselect_b32 s21, s36, s60                                // 00000000535C: 85153C24
	s_mov_b64 exec, s[20:21]                                   // 000000005360: BEFE0114
	global_atomic_add_f32 v6, v70, s[8:9] offset:8             // 000000005364: DD348008 00084606
	s_mov_b64 exec, s[36:37]                                   // 00000000536C: BEFE0124
	v_mov_b32_e32 v6, v53                                      // 000000005370: 7E0C0335
	s_mov_b64 s[60:61], 0                                      // 000000005374: BEBC0180
	v_readlane_b32 s82, v3, 10                                 // 000000005378: D2890052 00011503
	s_and_b32 s82, s82, 0xffffff                               // 000000005380: 8652FF52 00FFFFFF
	s_cmp_lt_u32 s82, s66                                      // 000000005388: BF0A4252
	s_cselect_b32 s20, s36, s60                                // 00000000538C: 85143C24
	v_readlane_b32 s82, v3, 11                                 // 000000005390: D2890052 00011703
	s_and_b32 s82, s82, 0xffffff                               // 000000005398: 8652FF52 00FFFFFF
	s_cmp_lt_u32 s82, s66                                      // 0000000053A0: BF0A4252
	s_cselect_b32 s21, s36, s60                                // 0000000053A4: 85153C24
	s_mov_b64 exec, s[20:21]                                   // 0000000053A8: BEFE0114
	global_atomic_add_f32 v6, v71, s[8:9] offset:8             // 0000000053AC: DD348008 00084706
	s_mov_b64 exec, s[36:37]                                   // 0000000053B4: BEFE0124
	v_mov_b32_e32 v6, v54                                      // 0000000053B8: 7E0C0336
	s_mov_b64 s[60:61], 0                                      // 0000000053BC: BEBC0180
	v_readlane_b32 s82, v3, 12                                 // 0000000053C0: D2890052 00011903
	s_and_b32 s82, s82, 0xffffff                               // 0000000053C8: 8652FF52 00FFFFFF
	s_cmp_lt_u32 s82, s66                                      // 0000000053D0: BF0A4252
	s_cselect_b32 s20, s36, s60                                // 0000000053D4: 85143C24
	v_readlane_b32 s82, v3, 13                                 // 0000000053D8: D2890052 00011B03
	s_and_b32 s82, s82, 0xffffff                               // 0000000053E0: 8652FF52 00FFFFFF
	s_cmp_lt_u32 s82, s66                                      // 0000000053E8: BF0A4252
	s_cselect_b32 s21, s36, s60                                // 0000000053EC: 85153C24
	s_mov_b64 exec, s[20:21]                                   // 0000000053F0: BEFE0114
	global_atomic_add_f32 v6, v74, s[8:9] offset:8             // 0000000053F4: DD348008 00084A06
	s_mov_b64 exec, s[36:37]                                   // 0000000053FC: BEFE0124
	v_mov_b32_e32 v6, v55                                      // 000000005400: 7E0C0337
	s_mov_b64 s[60:61], 0                                      // 000000005404: BEBC0180
	v_readlane_b32 s82, v3, 14                                 // 000000005408: D2890052 00011D03
	s_and_b32 s82, s82, 0xffffff                               // 000000005410: 8652FF52 00FFFFFF
	s_cmp_lt_u32 s82, s66                                      // 000000005418: BF0A4252
	s_cselect_b32 s20, s36, s60                                // 00000000541C: 85143C24
	v_readlane_b32 s82, v3, 15                                 // 000000005420: D2890052 00011F03
	s_and_b32 s82, s82, 0xffffff                               // 000000005428: 8652FF52 00FFFFFF
	s_cmp_lt_u32 s82, s66                                      // 000000005430: BF0A4252
	s_cselect_b32 s21, s36, s60                                // 000000005434: 85153C24
	s_mov_b64 exec, s[20:21]                                   // 000000005438: BEFE0114
	global_atomic_add_f32 v6, v75, s[8:9] offset:8             // 00000000543C: DD348008 00084B06
	s_mov_b64 exec, s[36:37]                                   // 000000005444: BEFE0124
	v_mov_b32_e32 v6, v56                                      // 000000005448: 7E0C0338
	s_mov_b64 s[60:61], 0                                      // 00000000544C: BEBC0180
	v_readlane_b32 s82, v3, 16                                 // 000000005450: D2890052 00012103
	s_and_b32 s82, s82, 0xffffff                               // 000000005458: 8652FF52 00FFFFFF
	s_cmp_lt_u32 s82, s66                                      // 000000005460: BF0A4252
	s_cselect_b32 s20, s36, s60                                // 000000005464: 85143C24
	v_readlane_b32 s82, v3, 17                                 // 000000005468: D2890052 00012303
	s_and_b32 s82, s82, 0xffffff                               // 000000005470: 8652FF52 00FFFFFF
	s_cmp_lt_u32 s82, s66                                      // 000000005478: BF0A4252
	s_cselect_b32 s21, s36, s60                                // 00000000547C: 85153C24
	s_mov_b64 exec, s[20:21]                                   // 000000005480: BEFE0114
	global_atomic_add_f32 v6, v78, s[8:9] offset:8             // 000000005484: DD348008 00084E06
	s_mov_b64 exec, s[36:37]                                   // 00000000548C: BEFE0124
	v_mov_b32_e32 v6, v57                                      // 000000005490: 7E0C0339
	s_mov_b64 s[60:61], 0                                      // 000000005494: BEBC0180
	v_readlane_b32 s82, v3, 18                                 // 000000005498: D2890052 00012503
	s_and_b32 s82, s82, 0xffffff                               // 0000000054A0: 8652FF52 00FFFFFF
	s_cmp_lt_u32 s82, s66                                      // 0000000054A8: BF0A4252
	s_cselect_b32 s20, s36, s60                                // 0000000054AC: 85143C24
	v_readlane_b32 s82, v3, 19                                 // 0000000054B0: D2890052 00012703
	s_and_b32 s82, s82, 0xffffff                               // 0000000054B8: 8652FF52 00FFFFFF
	s_cmp_lt_u32 s82, s66                                      // 0000000054C0: BF0A4252
	s_cselect_b32 s21, s36, s60                                // 0000000054C4: 85153C24
	s_mov_b64 exec, s[20:21]                                   // 0000000054C8: BEFE0114
	global_atomic_add_f32 v6, v79, s[8:9] offset:8             // 0000000054CC: DD348008 00084F06
	s_mov_b64 exec, s[36:37]                                   // 0000000054D4: BEFE0124
	ds_write_b64 v20, v[80:81]                                 // 0000000054D8: D89A0000 00005014
	ds_write_b64 v20, v[84:85] offset:2176                     // 0000000054E0: D89A0880 00005414
	ds_write_b64 v20, v[88:89] offset:4352                     // 0000000054E8: D89A1100 00005814
	ds_write_b64 v20, v[92:93] offset:6528                     // 0000000054F0: D89A1980 00005C14
	ds_write_b64 v20, v[96:97] offset:8704                     // 0000000054F8: D89A2200 00006014
	s_waitcnt lgkmcnt(0)                                       // 000000005500: BF8CC07F
	s_barrier                                                  // 000000005504: BF8A0000
	ds_read_b32 v80, v21                                       // 000000005508: D86C0000 50000015
	ds_read_b32 v81, v21 offset:64                             // 000000005510: D86C0040 51000015
	ds_read_b32 v84, v21 offset:2176                           // 000000005518: D86C0880 54000015
	ds_read_b32 v85, v21 offset:2240                           // 000000005520: D86C08C0 55000015
	ds_read_b32 v88, v21 offset:4352                           // 000000005528: D86C1100 58000015
	ds_read_b32 v89, v21 offset:4416                           // 000000005530: D86C1140 59000015
	ds_read_b32 v92, v21 offset:6528                           // 000000005538: D86C1980 5C000015
	ds_read_b32 v93, v21 offset:6592                           // 000000005540: D86C19C0 5D000015
	ds_read_b32 v96, v21 offset:8704                           // 000000005548: D86C2200 60000015
	ds_read_b32 v97, v21 offset:8768                           // 000000005550: D86C2240 61000015
	s_mul_i32 s60, s65, 4                                      // 000000005558: 923C8441
	s_add_u32 s8, s60, s8                                      // 00000000555C: 8008083C
	s_addc_u32 s9, 0, s9                                       // 000000005560: 82090980
	s_waitcnt lgkmcnt(0)                                       // 000000005564: BF8CC07F
	v_mov_b32_e32 v7, 0                                        // 000000005568: 7E0E0280
	s_mov_b64 exec, s[36:37]                                   // 00000000556C: BEFE0124
	v_mov_b32_e32 v6, v48                                      // 000000005570: 7E0C0330
	s_mov_b64 s[60:61], 0                                      // 000000005574: BEBC0180
	v_readlane_b32 s82, v3, 0                                  // 000000005578: D2890052 00010103
	s_and_b32 s82, s82, 0xffffff                               // 000000005580: 8652FF52 00FFFFFF
	s_cmp_lt_u32 s82, s66                                      // 000000005588: BF0A4252
	s_cselect_b32 s20, s36, s60                                // 00000000558C: 85143C24
	v_readlane_b32 s82, v3, 1                                  // 000000005590: D2890052 00010303
	s_and_b32 s82, s82, 0xffffff                               // 000000005598: 8652FF52 00FFFFFF
	s_cmp_lt_u32 s82, s66                                      // 0000000055A0: BF0A4252
	s_cselect_b32 s21, s36, s60                                // 0000000055A4: 85153C24
	s_mov_b64 exec, s[20:21]                                   // 0000000055A8: BEFE0114
	global_atomic_add_f32 v6, v80, s[8:9]                      // 0000000055AC: DD348000 00085006
	s_mov_b64 exec, s[36:37]                                   // 0000000055B4: BEFE0124
	v_mov_b32_e32 v6, v49                                      // 0000000055B8: 7E0C0331
	s_mov_b64 s[60:61], 0                                      // 0000000055BC: BEBC0180
	v_readlane_b32 s82, v3, 2                                  // 0000000055C0: D2890052 00010503
	s_and_b32 s82, s82, 0xffffff                               // 0000000055C8: 8652FF52 00FFFFFF
	s_cmp_lt_u32 s82, s66                                      // 0000000055D0: BF0A4252
	s_cselect_b32 s20, s36, s60                                // 0000000055D4: 85143C24
	v_readlane_b32 s82, v3, 3                                  // 0000000055D8: D2890052 00010703
	s_and_b32 s82, s82, 0xffffff                               // 0000000055E0: 8652FF52 00FFFFFF
	s_cmp_lt_u32 s82, s66                                      // 0000000055E8: BF0A4252
	s_cselect_b32 s21, s36, s60                                // 0000000055EC: 85153C24
	s_mov_b64 exec, s[20:21]                                   // 0000000055F0: BEFE0114
	global_atomic_add_f32 v6, v81, s[8:9]                      // 0000000055F4: DD348000 00085106
	s_mov_b64 exec, s[36:37]                                   // 0000000055FC: BEFE0124
	v_mov_b32_e32 v6, v50                                      // 000000005600: 7E0C0332
	s_mov_b64 s[60:61], 0                                      // 000000005604: BEBC0180
	v_readlane_b32 s82, v3, 4                                  // 000000005608: D2890052 00010903
	s_and_b32 s82, s82, 0xffffff                               // 000000005610: 8652FF52 00FFFFFF
	s_cmp_lt_u32 s82, s66                                      // 000000005618: BF0A4252
	s_cselect_b32 s20, s36, s60                                // 00000000561C: 85143C24
	v_readlane_b32 s82, v3, 5                                  // 000000005620: D2890052 00010B03
	s_and_b32 s82, s82, 0xffffff                               // 000000005628: 8652FF52 00FFFFFF
	s_cmp_lt_u32 s82, s66                                      // 000000005630: BF0A4252
	s_cselect_b32 s21, s36, s60                                // 000000005634: 85153C24
	s_mov_b64 exec, s[20:21]                                   // 000000005638: BEFE0114
	global_atomic_add_f32 v6, v84, s[8:9]                      // 00000000563C: DD348000 00085406
	s_mov_b64 exec, s[36:37]                                   // 000000005644: BEFE0124
	v_mov_b32_e32 v6, v51                                      // 000000005648: 7E0C0333
	s_mov_b64 s[60:61], 0                                      // 00000000564C: BEBC0180
	v_readlane_b32 s82, v3, 6                                  // 000000005650: D2890052 00010D03
	s_and_b32 s82, s82, 0xffffff                               // 000000005658: 8652FF52 00FFFFFF
	s_cmp_lt_u32 s82, s66                                      // 000000005660: BF0A4252
	s_cselect_b32 s20, s36, s60                                // 000000005664: 85143C24
	v_readlane_b32 s82, v3, 7                                  // 000000005668: D2890052 00010F03
	s_and_b32 s82, s82, 0xffffff                               // 000000005670: 8652FF52 00FFFFFF
	s_cmp_lt_u32 s82, s66                                      // 000000005678: BF0A4252
	s_cselect_b32 s21, s36, s60                                // 00000000567C: 85153C24
	s_mov_b64 exec, s[20:21]                                   // 000000005680: BEFE0114
	global_atomic_add_f32 v6, v85, s[8:9]                      // 000000005684: DD348000 00085506
	s_mov_b64 exec, s[36:37]                                   // 00000000568C: BEFE0124
	v_mov_b32_e32 v6, v52                                      // 000000005690: 7E0C0334
	s_mov_b64 s[60:61], 0                                      // 000000005694: BEBC0180
	v_readlane_b32 s82, v3, 8                                  // 000000005698: D2890052 00011103
	s_and_b32 s82, s82, 0xffffff                               // 0000000056A0: 8652FF52 00FFFFFF
	s_cmp_lt_u32 s82, s66                                      // 0000000056A8: BF0A4252
	s_cselect_b32 s20, s36, s60                                // 0000000056AC: 85143C24
	v_readlane_b32 s82, v3, 9                                  // 0000000056B0: D2890052 00011303
	s_and_b32 s82, s82, 0xffffff                               // 0000000056B8: 8652FF52 00FFFFFF
	s_cmp_lt_u32 s82, s66                                      // 0000000056C0: BF0A4252
	s_cselect_b32 s21, s36, s60                                // 0000000056C4: 85153C24
	s_mov_b64 exec, s[20:21]                                   // 0000000056C8: BEFE0114
	global_atomic_add_f32 v6, v88, s[8:9]                      // 0000000056CC: DD348000 00085806
	s_mov_b64 exec, s[36:37]                                   // 0000000056D4: BEFE0124
	v_mov_b32_e32 v6, v53                                      // 0000000056D8: 7E0C0335
	s_mov_b64 s[60:61], 0                                      // 0000000056DC: BEBC0180
	v_readlane_b32 s82, v3, 10                                 // 0000000056E0: D2890052 00011503
	s_and_b32 s82, s82, 0xffffff                               // 0000000056E8: 8652FF52 00FFFFFF
	s_cmp_lt_u32 s82, s66                                      // 0000000056F0: BF0A4252
	s_cselect_b32 s20, s36, s60                                // 0000000056F4: 85143C24
	v_readlane_b32 s82, v3, 11                                 // 0000000056F8: D2890052 00011703
	s_and_b32 s82, s82, 0xffffff                               // 000000005700: 8652FF52 00FFFFFF
	s_cmp_lt_u32 s82, s66                                      // 000000005708: BF0A4252
	s_cselect_b32 s21, s36, s60                                // 00000000570C: 85153C24
	s_mov_b64 exec, s[20:21]                                   // 000000005710: BEFE0114
	global_atomic_add_f32 v6, v89, s[8:9]                      // 000000005714: DD348000 00085906
	s_mov_b64 exec, s[36:37]                                   // 00000000571C: BEFE0124
	v_mov_b32_e32 v6, v54                                      // 000000005720: 7E0C0336
	s_mov_b64 s[60:61], 0                                      // 000000005724: BEBC0180
	v_readlane_b32 s82, v3, 12                                 // 000000005728: D2890052 00011903
	s_and_b32 s82, s82, 0xffffff                               // 000000005730: 8652FF52 00FFFFFF
	s_cmp_lt_u32 s82, s66                                      // 000000005738: BF0A4252
	s_cselect_b32 s20, s36, s60                                // 00000000573C: 85143C24
	v_readlane_b32 s82, v3, 13                                 // 000000005740: D2890052 00011B03
	s_and_b32 s82, s82, 0xffffff                               // 000000005748: 8652FF52 00FFFFFF
	s_cmp_lt_u32 s82, s66                                      // 000000005750: BF0A4252
	s_cselect_b32 s21, s36, s60                                // 000000005754: 85153C24
	s_mov_b64 exec, s[20:21]                                   // 000000005758: BEFE0114
	global_atomic_add_f32 v6, v92, s[8:9]                      // 00000000575C: DD348000 00085C06
	s_mov_b64 exec, s[36:37]                                   // 000000005764: BEFE0124
	v_mov_b32_e32 v6, v55                                      // 000000005768: 7E0C0337
	s_mov_b64 s[60:61], 0                                      // 00000000576C: BEBC0180
	v_readlane_b32 s82, v3, 14                                 // 000000005770: D2890052 00011D03
	s_and_b32 s82, s82, 0xffffff                               // 000000005778: 8652FF52 00FFFFFF
	s_cmp_lt_u32 s82, s66                                      // 000000005780: BF0A4252
	s_cselect_b32 s20, s36, s60                                // 000000005784: 85143C24
	v_readlane_b32 s82, v3, 15                                 // 000000005788: D2890052 00011F03
	s_and_b32 s82, s82, 0xffffff                               // 000000005790: 8652FF52 00FFFFFF
	s_cmp_lt_u32 s82, s66                                      // 000000005798: BF0A4252
	s_cselect_b32 s21, s36, s60                                // 00000000579C: 85153C24
	s_mov_b64 exec, s[20:21]                                   // 0000000057A0: BEFE0114
	global_atomic_add_f32 v6, v93, s[8:9]                      // 0000000057A4: DD348000 00085D06
	s_mov_b64 exec, s[36:37]                                   // 0000000057AC: BEFE0124
	v_mov_b32_e32 v6, v56                                      // 0000000057B0: 7E0C0338
	s_mov_b64 s[60:61], 0                                      // 0000000057B4: BEBC0180
	v_readlane_b32 s82, v3, 16                                 // 0000000057B8: D2890052 00012103
	s_and_b32 s82, s82, 0xffffff                               // 0000000057C0: 8652FF52 00FFFFFF
	s_cmp_lt_u32 s82, s66                                      // 0000000057C8: BF0A4252
	s_cselect_b32 s20, s36, s60                                // 0000000057CC: 85143C24
	v_readlane_b32 s82, v3, 17                                 // 0000000057D0: D2890052 00012303
	s_and_b32 s82, s82, 0xffffff                               // 0000000057D8: 8652FF52 00FFFFFF
	s_cmp_lt_u32 s82, s66                                      // 0000000057E0: BF0A4252
	s_cselect_b32 s21, s36, s60                                // 0000000057E4: 85153C24
	s_mov_b64 exec, s[20:21]                                   // 0000000057E8: BEFE0114
	global_atomic_add_f32 v6, v96, s[8:9]                      // 0000000057EC: DD348000 00086006
	s_mov_b64 exec, s[36:37]                                   // 0000000057F4: BEFE0124
	v_mov_b32_e32 v6, v57                                      // 0000000057F8: 7E0C0339
	s_mov_b64 s[60:61], 0                                      // 0000000057FC: BEBC0180
	v_readlane_b32 s82, v3, 18                                 // 000000005800: D2890052 00012503
	s_and_b32 s82, s82, 0xffffff                               // 000000005808: 8652FF52 00FFFFFF
	s_cmp_lt_u32 s82, s66                                      // 000000005810: BF0A4252
	s_cselect_b32 s20, s36, s60                                // 000000005814: 85143C24
	v_readlane_b32 s82, v3, 19                                 // 000000005818: D2890052 00012703
	s_and_b32 s82, s82, 0xffffff                               // 000000005820: 8652FF52 00FFFFFF
	s_cmp_lt_u32 s82, s66                                      // 000000005828: BF0A4252
	s_cselect_b32 s21, s36, s60                                // 00000000582C: 85153C24
	s_mov_b64 exec, s[20:21]                                   // 000000005830: BEFE0114
	global_atomic_add_f32 v6, v97, s[8:9]                      // 000000005834: DD348000 00086106
	s_mov_b64 exec, s[36:37]                                   // 00000000583C: BEFE0124
	ds_write_b64 v20, v[82:83]                                 // 000000005840: D89A0000 00005214
	ds_write_b64 v20, v[86:87] offset:2176                     // 000000005848: D89A0880 00005614
	ds_write_b64 v20, v[90:91] offset:4352                     // 000000005850: D89A1100 00005A14
	ds_write_b64 v20, v[94:95] offset:6528                     // 000000005858: D89A1980 00005E14
	ds_write_b64 v20, v[98:99] offset:8704                     // 000000005860: D89A2200 00006214
	s_waitcnt lgkmcnt(0)                                       // 000000005868: BF8CC07F
	s_barrier                                                  // 00000000586C: BF8A0000
	ds_read_b32 v82, v21                                       // 000000005870: D86C0000 52000015
	ds_read_b32 v83, v21 offset:64                             // 000000005878: D86C0040 53000015
	ds_read_b32 v86, v21 offset:2176                           // 000000005880: D86C0880 56000015
	ds_read_b32 v87, v21 offset:2240                           // 000000005888: D86C08C0 57000015
	ds_read_b32 v90, v21 offset:4352                           // 000000005890: D86C1100 5A000015
	ds_read_b32 v91, v21 offset:4416                           // 000000005898: D86C1140 5B000015
	ds_read_b32 v94, v21 offset:6528                           // 0000000058A0: D86C1980 5E000015
	ds_read_b32 v95, v21 offset:6592                           // 0000000058A8: D86C19C0 5F000015
	ds_read_b32 v98, v21 offset:8704                           // 0000000058B0: D86C2200 62000015
	ds_read_b32 v99, v21 offset:8768                           // 0000000058B8: D86C2240 63000015
	s_waitcnt lgkmcnt(0)                                       // 0000000058C0: BF8CC07F
	v_mov_b32_e32 v7, 0                                        // 0000000058C4: 7E0E0280
	s_mov_b64 exec, s[36:37]                                   // 0000000058C8: BEFE0124
	v_mov_b32_e32 v6, v48                                      // 0000000058CC: 7E0C0330
	s_mov_b64 s[60:61], 0                                      // 0000000058D0: BEBC0180
	v_readlane_b32 s82, v3, 0                                  // 0000000058D4: D2890052 00010103
	s_and_b32 s82, s82, 0xffffff                               // 0000000058DC: 8652FF52 00FFFFFF
	s_cmp_lt_u32 s82, s66                                      // 0000000058E4: BF0A4252
	s_cselect_b32 s20, s36, s60                                // 0000000058E8: 85143C24
	v_readlane_b32 s82, v3, 1                                  // 0000000058EC: D2890052 00010303
	s_and_b32 s82, s82, 0xffffff                               // 0000000058F4: 8652FF52 00FFFFFF
	s_cmp_lt_u32 s82, s66                                      // 0000000058FC: BF0A4252
	s_cselect_b32 s21, s36, s60                                // 000000005900: 85153C24
	s_mov_b64 exec, s[20:21]                                   // 000000005904: BEFE0114
	global_atomic_add_f32 v6, v82, s[8:9] offset:8             // 000000005908: DD348008 00085206
	s_mov_b64 exec, s[36:37]                                   // 000000005910: BEFE0124
	v_mov_b32_e32 v6, v49                                      // 000000005914: 7E0C0331
	s_mov_b64 s[60:61], 0                                      // 000000005918: BEBC0180
	v_readlane_b32 s82, v3, 2                                  // 00000000591C: D2890052 00010503
	s_and_b32 s82, s82, 0xffffff                               // 000000005924: 8652FF52 00FFFFFF
	s_cmp_lt_u32 s82, s66                                      // 00000000592C: BF0A4252
	s_cselect_b32 s20, s36, s60                                // 000000005930: 85143C24
	v_readlane_b32 s82, v3, 3                                  // 000000005934: D2890052 00010703
	s_and_b32 s82, s82, 0xffffff                               // 00000000593C: 8652FF52 00FFFFFF
	s_cmp_lt_u32 s82, s66                                      // 000000005944: BF0A4252
	s_cselect_b32 s21, s36, s60                                // 000000005948: 85153C24
	s_mov_b64 exec, s[20:21]                                   // 00000000594C: BEFE0114
	global_atomic_add_f32 v6, v83, s[8:9] offset:8             // 000000005950: DD348008 00085306
	s_mov_b64 exec, s[36:37]                                   // 000000005958: BEFE0124
	v_mov_b32_e32 v6, v50                                      // 00000000595C: 7E0C0332
	s_mov_b64 s[60:61], 0                                      // 000000005960: BEBC0180
	v_readlane_b32 s82, v3, 4                                  // 000000005964: D2890052 00010903
	s_and_b32 s82, s82, 0xffffff                               // 00000000596C: 8652FF52 00FFFFFF
	s_cmp_lt_u32 s82, s66                                      // 000000005974: BF0A4252
	s_cselect_b32 s20, s36, s60                                // 000000005978: 85143C24
	v_readlane_b32 s82, v3, 5                                  // 00000000597C: D2890052 00010B03
	s_and_b32 s82, s82, 0xffffff                               // 000000005984: 8652FF52 00FFFFFF
	s_cmp_lt_u32 s82, s66                                      // 00000000598C: BF0A4252
	s_cselect_b32 s21, s36, s60                                // 000000005990: 85153C24
	s_mov_b64 exec, s[20:21]                                   // 000000005994: BEFE0114
	global_atomic_add_f32 v6, v86, s[8:9] offset:8             // 000000005998: DD348008 00085606
	s_mov_b64 exec, s[36:37]                                   // 0000000059A0: BEFE0124
	v_mov_b32_e32 v6, v51                                      // 0000000059A4: 7E0C0333
	s_mov_b64 s[60:61], 0                                      // 0000000059A8: BEBC0180
	v_readlane_b32 s82, v3, 6                                  // 0000000059AC: D2890052 00010D03
	s_and_b32 s82, s82, 0xffffff                               // 0000000059B4: 8652FF52 00FFFFFF
	s_cmp_lt_u32 s82, s66                                      // 0000000059BC: BF0A4252
	s_cselect_b32 s20, s36, s60                                // 0000000059C0: 85143C24
	v_readlane_b32 s82, v3, 7                                  // 0000000059C4: D2890052 00010F03
	s_and_b32 s82, s82, 0xffffff                               // 0000000059CC: 8652FF52 00FFFFFF
	s_cmp_lt_u32 s82, s66                                      // 0000000059D4: BF0A4252
	s_cselect_b32 s21, s36, s60                                // 0000000059D8: 85153C24
	s_mov_b64 exec, s[20:21]                                   // 0000000059DC: BEFE0114
	global_atomic_add_f32 v6, v87, s[8:9] offset:8             // 0000000059E0: DD348008 00085706
	s_mov_b64 exec, s[36:37]                                   // 0000000059E8: BEFE0124
	v_mov_b32_e32 v6, v52                                      // 0000000059EC: 7E0C0334
	s_mov_b64 s[60:61], 0                                      // 0000000059F0: BEBC0180
	v_readlane_b32 s82, v3, 8                                  // 0000000059F4: D2890052 00011103
	s_and_b32 s82, s82, 0xffffff                               // 0000000059FC: 8652FF52 00FFFFFF
	s_cmp_lt_u32 s82, s66                                      // 000000005A04: BF0A4252
	s_cselect_b32 s20, s36, s60                                // 000000005A08: 85143C24
	v_readlane_b32 s82, v3, 9                                  // 000000005A0C: D2890052 00011303
	s_and_b32 s82, s82, 0xffffff                               // 000000005A14: 8652FF52 00FFFFFF
	s_cmp_lt_u32 s82, s66                                      // 000000005A1C: BF0A4252
	s_cselect_b32 s21, s36, s60                                // 000000005A20: 85153C24
	s_mov_b64 exec, s[20:21]                                   // 000000005A24: BEFE0114
	global_atomic_add_f32 v6, v90, s[8:9] offset:8             // 000000005A28: DD348008 00085A06
	s_mov_b64 exec, s[36:37]                                   // 000000005A30: BEFE0124
	v_mov_b32_e32 v6, v53                                      // 000000005A34: 7E0C0335
	s_mov_b64 s[60:61], 0                                      // 000000005A38: BEBC0180
	v_readlane_b32 s82, v3, 10                                 // 000000005A3C: D2890052 00011503
	s_and_b32 s82, s82, 0xffffff                               // 000000005A44: 8652FF52 00FFFFFF
	s_cmp_lt_u32 s82, s66                                      // 000000005A4C: BF0A4252
	s_cselect_b32 s20, s36, s60                                // 000000005A50: 85143C24
	v_readlane_b32 s82, v3, 11                                 // 000000005A54: D2890052 00011703
	s_and_b32 s82, s82, 0xffffff                               // 000000005A5C: 8652FF52 00FFFFFF
	s_cmp_lt_u32 s82, s66                                      // 000000005A64: BF0A4252
	s_cselect_b32 s21, s36, s60                                // 000000005A68: 85153C24
	s_mov_b64 exec, s[20:21]                                   // 000000005A6C: BEFE0114
	global_atomic_add_f32 v6, v91, s[8:9] offset:8             // 000000005A70: DD348008 00085B06
	s_mov_b64 exec, s[36:37]                                   // 000000005A78: BEFE0124
	v_mov_b32_e32 v6, v54                                      // 000000005A7C: 7E0C0336
	s_mov_b64 s[60:61], 0                                      // 000000005A80: BEBC0180
	v_readlane_b32 s82, v3, 12                                 // 000000005A84: D2890052 00011903
	s_and_b32 s82, s82, 0xffffff                               // 000000005A8C: 8652FF52 00FFFFFF
	s_cmp_lt_u32 s82, s66                                      // 000000005A94: BF0A4252
	s_cselect_b32 s20, s36, s60                                // 000000005A98: 85143C24
	v_readlane_b32 s82, v3, 13                                 // 000000005A9C: D2890052 00011B03
	s_and_b32 s82, s82, 0xffffff                               // 000000005AA4: 8652FF52 00FFFFFF
	s_cmp_lt_u32 s82, s66                                      // 000000005AAC: BF0A4252
	s_cselect_b32 s21, s36, s60                                // 000000005AB0: 85153C24
	s_mov_b64 exec, s[20:21]                                   // 000000005AB4: BEFE0114
	global_atomic_add_f32 v6, v94, s[8:9] offset:8             // 000000005AB8: DD348008 00085E06
	s_mov_b64 exec, s[36:37]                                   // 000000005AC0: BEFE0124
	v_mov_b32_e32 v6, v55                                      // 000000005AC4: 7E0C0337
	s_mov_b64 s[60:61], 0                                      // 000000005AC8: BEBC0180
	v_readlane_b32 s82, v3, 14                                 // 000000005ACC: D2890052 00011D03
	s_and_b32 s82, s82, 0xffffff                               // 000000005AD4: 8652FF52 00FFFFFF
	s_cmp_lt_u32 s82, s66                                      // 000000005ADC: BF0A4252
	s_cselect_b32 s20, s36, s60                                // 000000005AE0: 85143C24
	v_readlane_b32 s82, v3, 15                                 // 000000005AE4: D2890052 00011F03
	s_and_b32 s82, s82, 0xffffff                               // 000000005AEC: 8652FF52 00FFFFFF
	s_cmp_lt_u32 s82, s66                                      // 000000005AF4: BF0A4252
	s_cselect_b32 s21, s36, s60                                // 000000005AF8: 85153C24
	s_mov_b64 exec, s[20:21]                                   // 000000005AFC: BEFE0114
	global_atomic_add_f32 v6, v95, s[8:9] offset:8             // 000000005B00: DD348008 00085F06
	s_mov_b64 exec, s[36:37]                                   // 000000005B08: BEFE0124
	v_mov_b32_e32 v6, v56                                      // 000000005B0C: 7E0C0338
	s_mov_b64 s[60:61], 0                                      // 000000005B10: BEBC0180
	v_readlane_b32 s82, v3, 16                                 // 000000005B14: D2890052 00012103
	s_and_b32 s82, s82, 0xffffff                               // 000000005B1C: 8652FF52 00FFFFFF
	s_cmp_lt_u32 s82, s66                                      // 000000005B24: BF0A4252
	s_cselect_b32 s20, s36, s60                                // 000000005B28: 85143C24
	v_readlane_b32 s82, v3, 17                                 // 000000005B2C: D2890052 00012303
	s_and_b32 s82, s82, 0xffffff                               // 000000005B34: 8652FF52 00FFFFFF
	s_cmp_lt_u32 s82, s66                                      // 000000005B3C: BF0A4252
	s_cselect_b32 s21, s36, s60                                // 000000005B40: 85153C24
	s_mov_b64 exec, s[20:21]                                   // 000000005B44: BEFE0114
	global_atomic_add_f32 v6, v98, s[8:9] offset:8             // 000000005B48: DD348008 00086206
	s_mov_b64 exec, s[36:37]                                   // 000000005B50: BEFE0124
	v_mov_b32_e32 v6, v57                                      // 000000005B54: 7E0C0339
	s_mov_b64 s[60:61], 0                                      // 000000005B58: BEBC0180
	v_readlane_b32 s82, v3, 18                                 // 000000005B5C: D2890052 00012503
	s_and_b32 s82, s82, 0xffffff                               // 000000005B64: 8652FF52 00FFFFFF
	s_cmp_lt_u32 s82, s66                                      // 000000005B6C: BF0A4252
	s_cselect_b32 s20, s36, s60                                // 000000005B70: 85143C24
	v_readlane_b32 s82, v3, 19                                 // 000000005B74: D2890052 00012703
	s_and_b32 s82, s82, 0xffffff                               // 000000005B7C: 8652FF52 00FFFFFF
	s_cmp_lt_u32 s82, s66                                      // 000000005B84: BF0A4252
	s_cselect_b32 s21, s36, s60                                // 000000005B88: 85153C24
	s_mov_b64 exec, s[20:21]                                   // 000000005B8C: BEFE0114
	global_atomic_add_f32 v6, v99, s[8:9] offset:8             // 000000005B90: DD348008 00086306
	s_mov_b64 exec, s[36:37]                                   // 000000005B98: BEFE0124
	s_branch label_1657                                        // 000000005B9C: BF8209EC

0000000000005ba0 <label_0C6B>:
	s_waitcnt vmcnt(0) lgkmcnt(0)                              // 000000005BA0: BF8C0070
	s_barrier                                                  // 000000005BA4: BF8A0000
	v_mfma_f32_16x16x32_fp8_fp8 v[60:63], a[80:81], a[0:1], v[60:63]// 000000005BA8: D3F3003C 1CF20150
	buffer_load_dwordx4 a[88:91], v58, s[84:87], 0 offen       // 000000005BB0: E05C1000 8095583A
	v_mfma_f32_16x16x32_fp8_fp8 v[60:63], a[82:83], a[2:3], v[60:63]// 000000005BB8: D3F3003C 1CF20552
	v_mfma_f32_16x16x32_fp8_fp8 v[60:63], a[84:85], a[4:5], v[60:63]// 000000005BC0: D3F3003C 1CF20954
	v_mfma_f32_16x16x32_fp8_fp8 v[60:63], a[86:87], a[6:7], v[60:63]// 000000005BC8: D3F3003C 1CF20D56
	v_mfma_f32_16x16x32_fp8_fp8 v[64:67], a[80:81], a[8:9], v[64:67]// 000000005BD0: D3F30040 1D021150
	buffer_load_dwordx4 a[92:95], v58, s[84:87], 0 offen offset:1024// 000000005BD8: E05C1400 80955C3A
	buffer_load_dword v48, s[20:23], 0 offen lds               // 000000005BE0: E0511000 80050030
	s_add_u32 m0, 0x100, s48                                   // 000000005BE8: 807C30FF 00000100
	v_mfma_f32_16x16x32_fp8_fp8 v[64:67], a[82:83], a[10:11], v[64:67]// 000000005BF0: D3F30040 1D021552
	v_mfma_f32_16x16x32_fp8_fp8 v[64:67], a[84:85], a[12:13], v[64:67]// 000000005BF8: D3F30040 1D021954
	buffer_load_dword v49, s[20:23], 0 offen lds               // 000000005C00: E0511000 80050031
	s_add_u32 m0, 0x200, s48                                   // 000000005C08: 807C30FF 00000200
	v_mfma_f32_16x16x32_fp8_fp8 v[64:67], a[86:87], a[14:15], v[64:67]// 000000005C10: D3F30040 1D021D56
	v_mfma_f32_16x16x32_fp8_fp8 v[68:71], a[80:81], a[16:17], v[68:71]// 000000005C18: D3F30044 1D122150
	buffer_load_dword v50, s[20:23], 0 offen lds               // 000000005C20: E0511000 80050032
	s_add_u32 m0, 0x300, s48                                   // 000000005C28: 807C30FF 00000300
	v_mfma_f32_16x16x32_fp8_fp8 v[68:71], a[82:83], a[18:19], v[68:71]// 000000005C30: D3F30044 1D122552
	v_mfma_f32_16x16x32_fp8_fp8 v[68:71], a[84:85], a[20:21], v[68:71]// 000000005C38: D3F30044 1D122954
	buffer_load_dword v51, s[20:23], 0 offen lds               // 000000005C40: E0511000 80050033
	s_add_u32 m0, 0x400, s48                                   // 000000005C48: 807C30FF 00000400
	v_mfma_f32_16x16x32_fp8_fp8 v[68:71], a[86:87], a[22:23], v[68:71]// 000000005C50: D3F30044 1D122D56
	v_mfma_f32_16x16x32_fp8_fp8 v[72:75], a[80:81], a[24:25], v[72:75]// 000000005C58: D3F30048 1D223150
	buffer_load_dword v52, s[20:23], 0 offen lds               // 000000005C60: E0511000 80050034
	s_add_u32 m0, 0x500, s48                                   // 000000005C68: 807C30FF 00000500
	v_mfma_f32_16x16x32_fp8_fp8 v[72:75], a[82:83], a[26:27], v[72:75]// 000000005C70: D3F30048 1D223552
	v_mfma_f32_16x16x32_fp8_fp8 v[72:75], a[84:85], a[28:29], v[72:75]// 000000005C78: D3F30048 1D223954
	buffer_load_dword v53, s[20:23], 0 offen lds               // 000000005C80: E0511000 80050035
	s_add_u32 m0, 0x600, s48                                   // 000000005C88: 807C30FF 00000600
	v_mfma_f32_16x16x32_fp8_fp8 v[72:75], a[86:87], a[30:31], v[72:75]// 000000005C90: D3F30048 1D223D56
	v_mfma_f32_16x16x32_fp8_fp8 v[76:79], a[80:81], a[32:33], v[76:79]// 000000005C98: D3F3004C 1D324150
	buffer_load_dword v54, s[20:23], 0 offen lds               // 000000005CA0: E0511000 80050036
	s_add_u32 m0, 0x700, s48                                   // 000000005CA8: 807C30FF 00000700
	v_mfma_f32_16x16x32_fp8_fp8 v[76:79], a[82:83], a[34:35], v[76:79]// 000000005CB0: D3F3004C 1D324552
	s_add_u32 s60, 0x80, s80                                   // 000000005CB8: 803C50FF 00000080
	s_cmp_lt_u32 s60, s81                                      // 000000005CC0: BF0A513C
	s_cselect_b32 s83, s83, 0                                  // 000000005CC4: 85538053
	v_mfma_f32_16x16x32_fp8_fp8 v[76:79], a[84:85], a[36:37], v[76:79]// 000000005CC8: D3F3004C 1D324954
	buffer_load_dword v55, s[20:23], 0 offen lds               // 000000005CD0: E0511000 80050037
	s_add_u32 m0, 0x800, s48                                   // 000000005CD8: 807C30FF 00000800
	v_mfma_f32_16x16x32_fp8_fp8 v[76:79], a[86:87], a[38:39], v[76:79]// 000000005CE0: D3F3004C 1D324D56
	buffer_load_dword v56, s[20:23], 0 offen lds               // 000000005CE8: E0511000 80050038
	s_add_u32 m0, 0x900, s48                                   // 000000005CF0: 807C30FF 00000900
	buffer_load_dword v57, s[20:23], 0 offen lds               // 000000005CF8: E0511000 80050039
	s_add_u32 m0, 0, s49                                       // 000000005D00: 807C3180
	s_waitcnt vmcnt(10)                                        // 000000005D04: BF8C0F7A
	v_mfma_f32_16x16x32_fp8_fp8 v[80:83], a[88:89], a[0:1], v[80:83]// 000000005D08: D3F30050 1D420158
	buffer_load_dwordx4 a[80:83], v58, s[24:27], 0 offen       // 000000005D10: E05C1000 8086503A
	v_mfma_f32_16x16x32_fp8_fp8 v[80:83], a[90:91], a[2:3], v[80:83]// 000000005D18: D3F30050 1D42055A
	v_mfma_f32_16x16x32_fp8_fp8 v[80:83], a[92:93], a[4:5], v[80:83]// 000000005D20: D3F30050 1D42095C
	ds_read_b128 a[40:43], v2 offset:10368                     // 000000005D28: DBFE2880 28000002
	ds_read_b128 a[44:47], v2 offset:10432                     // 000000005D30: DBFE28C0 2C000002
	v_mfma_f32_16x16x32_fp8_fp8 v[80:83], a[94:95], a[6:7], v[80:83]// 000000005D38: D3F30050 1D420D5E
	v_mfma_f32_16x16x32_fp8_fp8 v[84:87], a[88:89], a[8:9], v[84:87]// 000000005D40: D3F30054 1D521158
	buffer_load_dwordx4 a[84:87], v58, s[24:27], 0 offen offset:1024// 000000005D48: E05C1400 8086543A
	v_mfma_f32_16x16x32_fp8_fp8 v[84:87], a[90:91], a[10:11], v[84:87]// 000000005D50: D3F30054 1D52155A
	v_mfma_f32_16x16x32_fp8_fp8 v[84:87], a[92:93], a[12:13], v[84:87]// 000000005D58: D3F30054 1D52195C
	ds_read_b128 a[48:51], v2 offset:10880                     // 000000005D60: DBFE2A80 30000002
	ds_read_b128 a[52:55], v2 offset:10944                     // 000000005D68: DBFE2AC0 34000002
	v_mfma_f32_16x16x32_fp8_fp8 v[84:87], a[94:95], a[14:15], v[84:87]// 000000005D70: D3F30054 1D521D5E
	v_mfma_f32_16x16x32_fp8_fp8 v[88:91], a[88:89], a[16:17], v[88:91]// 000000005D78: D3F30058 1D622158
	v_mfma_f32_16x16x32_fp8_fp8 v[88:91], a[90:91], a[18:19], v[88:91]// 000000005D80: D3F30058 1D62255A
	v_mfma_f32_16x16x32_fp8_fp8 v[88:91], a[92:93], a[20:21], v[88:91]// 000000005D88: D3F30058 1D62295C
	ds_read_b128 a[56:59], v2 offset:11392                     // 000000005D90: DBFE2C80 38000002
	ds_read_b128 a[60:63], v2 offset:11456                     // 000000005D98: DBFE2CC0 3C000002
	v_mfma_f32_16x16x32_fp8_fp8 v[88:91], a[94:95], a[22:23], v[88:91]// 000000005DA0: D3F30058 1D622D5E
	v_mfma_f32_16x16x32_fp8_fp8 v[92:95], a[88:89], a[24:25], v[92:95]// 000000005DA8: D3F3005C 1D723158
	v_mfma_f32_16x16x32_fp8_fp8 v[92:95], a[90:91], a[26:27], v[92:95]// 000000005DB0: D3F3005C 1D72355A
	v_mfma_f32_16x16x32_fp8_fp8 v[92:95], a[92:93], a[28:29], v[92:95]// 000000005DB8: D3F3005C 1D72395C
	ds_read_b128 a[64:67], v2 offset:11904                     // 000000005DC0: DBFE2E80 40000002
	ds_read_b128 a[68:71], v2 offset:11968                     // 000000005DC8: DBFE2EC0 44000002
	s_add_u32 s60, 0x180, s80                                  // 000000005DD0: 803C50FF 00000180
	s_cmp_lt_u32 s60, s81                                      // 000000005DD8: BF0A513C
	s_cselect_b32 s57, s57, 0                                  // 000000005DDC: 85398039
	v_mfma_f32_16x16x32_fp8_fp8 v[92:95], a[94:95], a[30:31], v[92:95]// 000000005DE0: D3F3005C 1D723D5E
	s_add_u32 s60, 0x100, s80                                  // 000000005DE8: 803C50FF 00000100
	s_cmp_lt_u32 s60, s81                                      // 000000005DF0: BF0A513C
	s_cselect_b32 s58, s58, 0                                  // 000000005DF4: 853A803A
	v_mfma_f32_16x16x32_fp8_fp8 v[96:99], a[88:89], a[32:33], v[96:99]// 000000005DF8: D3F30060 1D824158
	s_add_u32 s24, s58, s24                                    // 000000005E00: 8018183A
	s_addc_u32 s25, 0, s25                                     // 000000005E04: 82191980
	v_mfma_f32_16x16x32_fp8_fp8 v[96:99], a[90:91], a[34:35], v[96:99]// 000000005E08: D3F30060 1D82455A
	s_add_u32 s20, s57, s20                                    // 000000005E10: 80141439
	s_addc_u32 s21, 0, s21                                     // 000000005E14: 82151580
	v_mfma_f32_16x16x32_fp8_fp8 v[96:99], a[92:93], a[36:37], v[96:99]// 000000005E18: D3F30060 1D82495C
	ds_read_b128 a[72:75], v2 offset:12416                     // 000000005E20: DBFE3080 48000002
	ds_read_b128 a[76:79], v2 offset:12480                     // 000000005E28: DBFE30C0 4C000002
	s_add_u32 s84, s83, s84                                    // 000000005E30: 80545453
	s_addc_u32 s85, 0, s85                                     // 000000005E34: 82555580
	v_mfma_f32_16x16x32_fp8_fp8 v[96:99], a[94:95], a[38:39], v[96:99]// 000000005E38: D3F30060 1D824D5E
	s_addk_i32 s80, 0x80                                       // 000000005E40: B7500080
	s_cmp_lt_i32 s80, s81                                      // 000000005E44: BF045150
	s_cbranch_scc0 label_0DC2                                  // 000000005E48: BF8400AC
	s_waitcnt vmcnt(0) lgkmcnt(0)                              // 000000005E4C: BF8C0070
	s_barrier                                                  // 000000005E50: BF8A0000
	v_mfma_f32_16x16x32_fp8_fp8 v[60:63], a[80:81], a[40:41], v[60:63]// 000000005E54: D3F3003C 1CF25150
	buffer_load_dwordx4 a[88:91], v58, s[84:87], 0 offen       // 000000005E5C: E05C1000 8095583A
	v_mfma_f32_16x16x32_fp8_fp8 v[60:63], a[82:83], a[42:43], v[60:63]// 000000005E64: D3F3003C 1CF25552
	v_mfma_f32_16x16x32_fp8_fp8 v[60:63], a[84:85], a[44:45], v[60:63]// 000000005E6C: D3F3003C 1CF25954
	v_mfma_f32_16x16x32_fp8_fp8 v[60:63], a[86:87], a[46:47], v[60:63]// 000000005E74: D3F3003C 1CF25D56
	v_mfma_f32_16x16x32_fp8_fp8 v[64:67], a[80:81], a[48:49], v[64:67]// 000000005E7C: D3F30040 1D026150
	buffer_load_dwordx4 a[92:95], v58, s[84:87], 0 offen offset:1024// 000000005E84: E05C1400 80955C3A
	buffer_load_dword v48, s[20:23], 0 offen lds               // 000000005E8C: E0511000 80050030
	s_add_u32 m0, 0x100, s49                                   // 000000005E94: 807C31FF 00000100
	v_mfma_f32_16x16x32_fp8_fp8 v[64:67], a[82:83], a[50:51], v[64:67]// 000000005E9C: D3F30040 1D026552
	v_mfma_f32_16x16x32_fp8_fp8 v[64:67], a[84:85], a[52:53], v[64:67]// 000000005EA4: D3F30040 1D026954
	buffer_load_dword v49, s[20:23], 0 offen lds               // 000000005EAC: E0511000 80050031
	s_add_u32 m0, 0x200, s49                                   // 000000005EB4: 807C31FF 00000200
	v_mfma_f32_16x16x32_fp8_fp8 v[64:67], a[86:87], a[54:55], v[64:67]// 000000005EBC: D3F30040 1D026D56
	v_mfma_f32_16x16x32_fp8_fp8 v[68:71], a[80:81], a[56:57], v[68:71]// 000000005EC4: D3F30044 1D127150
	buffer_load_dword v50, s[20:23], 0 offen lds               // 000000005ECC: E0511000 80050032
	s_add_u32 m0, 0x300, s49                                   // 000000005ED4: 807C31FF 00000300
	v_mfma_f32_16x16x32_fp8_fp8 v[68:71], a[82:83], a[58:59], v[68:71]// 000000005EDC: D3F30044 1D127552
	v_mfma_f32_16x16x32_fp8_fp8 v[68:71], a[84:85], a[60:61], v[68:71]// 000000005EE4: D3F30044 1D127954
	buffer_load_dword v51, s[20:23], 0 offen lds               // 000000005EEC: E0511000 80050033
	s_add_u32 m0, 0x400, s49                                   // 000000005EF4: 807C31FF 00000400
	v_mfma_f32_16x16x32_fp8_fp8 v[68:71], a[86:87], a[62:63], v[68:71]// 000000005EFC: D3F30044 1D127D56
	v_mfma_f32_16x16x32_fp8_fp8 v[72:75], a[80:81], a[64:65], v[72:75]// 000000005F04: D3F30048 1D228150
	buffer_load_dword v52, s[20:23], 0 offen lds               // 000000005F0C: E0511000 80050034
	s_add_u32 m0, 0x500, s49                                   // 000000005F14: 807C31FF 00000500
	v_mfma_f32_16x16x32_fp8_fp8 v[72:75], a[82:83], a[66:67], v[72:75]// 000000005F1C: D3F30048 1D228552
	v_mfma_f32_16x16x32_fp8_fp8 v[72:75], a[84:85], a[68:69], v[72:75]// 000000005F24: D3F30048 1D228954
	buffer_load_dword v53, s[20:23], 0 offen lds               // 000000005F2C: E0511000 80050035
	s_add_u32 m0, 0x600, s49                                   // 000000005F34: 807C31FF 00000600
	v_mfma_f32_16x16x32_fp8_fp8 v[72:75], a[86:87], a[70:71], v[72:75]// 000000005F3C: D3F30048 1D228D56
	v_mfma_f32_16x16x32_fp8_fp8 v[76:79], a[80:81], a[72:73], v[76:79]// 000000005F44: D3F3004C 1D329150
	buffer_load_dword v54, s[20:23], 0 offen lds               // 000000005F4C: E0511000 80050036
	s_add_u32 m0, 0x700, s49                                   // 000000005F54: 807C31FF 00000700
	v_mfma_f32_16x16x32_fp8_fp8 v[76:79], a[82:83], a[74:75], v[76:79]// 000000005F5C: D3F3004C 1D329552
	s_add_u32 s60, 0x80, s80                                   // 000000005F64: 803C50FF 00000080
	s_cmp_lt_u32 s60, s81                                      // 000000005F6C: BF0A513C
	s_cselect_b32 s83, s83, 0                                  // 000000005F70: 85538053
	v_mfma_f32_16x16x32_fp8_fp8 v[76:79], a[84:85], a[76:77], v[76:79]// 000000005F74: D3F3004C 1D329954
	buffer_load_dword v55, s[20:23], 0 offen lds               // 000000005F7C: E0511000 80050037
	s_add_u32 m0, 0x800, s49                                   // 000000005F84: 807C31FF 00000800
	v_mfma_f32_16x16x32_fp8_fp8 v[76:79], a[86:87], a[78:79], v[76:79]// 000000005F8C: D3F3004C 1D329D56
	buffer_load_dword v56, s[20:23], 0 offen lds               // 000000005F94: E0511000 80050038
	s_add_u32 m0, 0x900, s49                                   // 000000005F9C: 807C31FF 00000900
	buffer_load_dword v57, s[20:23], 0 offen lds               // 000000005FA4: E0511000 80050039
	s_add_u32 m0, 0, s48                                       // 000000005FAC: 807C3080
	s_waitcnt vmcnt(10)                                        // 000000005FB0: BF8C0F7A
	v_mfma_f32_16x16x32_fp8_fp8 v[80:83], a[88:89], a[40:41], v[80:83]// 000000005FB4: D3F30050 1D425158
	buffer_load_dwordx4 a[80:83], v58, s[24:27], 0 offen       // 000000005FBC: E05C1000 8086503A
	v_mfma_f32_16x16x32_fp8_fp8 v[80:83], a[90:91], a[42:43], v[80:83]// 000000005FC4: D3F30050 1D42555A
	v_mfma_f32_16x16x32_fp8_fp8 v[80:83], a[92:93], a[44:45], v[80:83]// 000000005FCC: D3F30050 1D42595C
	ds_read_b128 a[0:3], v2                                    // 000000005FD4: DBFE0000 00000002
	ds_read_b128 a[4:7], v2 offset:64                          // 000000005FDC: DBFE0040 04000002
	v_mfma_f32_16x16x32_fp8_fp8 v[80:83], a[94:95], a[46:47], v[80:83]// 000000005FE4: D3F30050 1D425D5E
	v_mfma_f32_16x16x32_fp8_fp8 v[84:87], a[88:89], a[48:49], v[84:87]// 000000005FEC: D3F30054 1D526158
	buffer_load_dwordx4 a[84:87], v58, s[24:27], 0 offen offset:1024// 000000005FF4: E05C1400 8086543A
	v_mfma_f32_16x16x32_fp8_fp8 v[84:87], a[90:91], a[50:51], v[84:87]// 000000005FFC: D3F30054 1D52655A
	v_mfma_f32_16x16x32_fp8_fp8 v[84:87], a[92:93], a[52:53], v[84:87]// 000000006004: D3F30054 1D52695C
	ds_read_b128 a[8:11], v2 offset:512                        // 00000000600C: DBFE0200 08000002
	ds_read_b128 a[12:15], v2 offset:576                       // 000000006014: DBFE0240 0C000002
	v_mfma_f32_16x16x32_fp8_fp8 v[84:87], a[94:95], a[54:55], v[84:87]// 00000000601C: D3F30054 1D526D5E
	v_mfma_f32_16x16x32_fp8_fp8 v[88:91], a[88:89], a[56:57], v[88:91]// 000000006024: D3F30058 1D627158
	v_mfma_f32_16x16x32_fp8_fp8 v[88:91], a[90:91], a[58:59], v[88:91]// 00000000602C: D3F30058 1D62755A
	v_mfma_f32_16x16x32_fp8_fp8 v[88:91], a[92:93], a[60:61], v[88:91]// 000000006034: D3F30058 1D62795C
	ds_read_b128 a[16:19], v2 offset:1024                      // 00000000603C: DBFE0400 10000002
	ds_read_b128 a[20:23], v2 offset:1088                      // 000000006044: DBFE0440 14000002
	v_mfma_f32_16x16x32_fp8_fp8 v[88:91], a[94:95], a[62:63], v[88:91]// 00000000604C: D3F30058 1D627D5E
	v_mfma_f32_16x16x32_fp8_fp8 v[92:95], a[88:89], a[64:65], v[92:95]// 000000006054: D3F3005C 1D728158
	v_mfma_f32_16x16x32_fp8_fp8 v[92:95], a[90:91], a[66:67], v[92:95]// 00000000605C: D3F3005C 1D72855A
	v_mfma_f32_16x16x32_fp8_fp8 v[92:95], a[92:93], a[68:69], v[92:95]// 000000006064: D3F3005C 1D72895C
	ds_read_b128 a[24:27], v2 offset:1536                      // 00000000606C: DBFE0600 18000002
	ds_read_b128 a[28:31], v2 offset:1600                      // 000000006074: DBFE0640 1C000002
	s_add_u32 s60, 0x180, s80                                  // 00000000607C: 803C50FF 00000180
	s_cmp_lt_u32 s60, s81                                      // 000000006084: BF0A513C
	s_cselect_b32 s57, s57, 0                                  // 000000006088: 85398039
	v_mfma_f32_16x16x32_fp8_fp8 v[92:95], a[94:95], a[70:71], v[92:95]// 00000000608C: D3F3005C 1D728D5E
	s_add_u32 s60, 0x100, s80                                  // 000000006094: 803C50FF 00000100
	s_cmp_lt_u32 s60, s81                                      // 00000000609C: BF0A513C
	s_cselect_b32 s58, s58, 0                                  // 0000000060A0: 853A803A
	v_mfma_f32_16x16x32_fp8_fp8 v[96:99], a[88:89], a[72:73], v[96:99]// 0000000060A4: D3F30060 1D829158
	s_add_u32 s24, s58, s24                                    // 0000000060AC: 8018183A
	s_addc_u32 s25, 0, s25                                     // 0000000060B0: 82191980
	v_mfma_f32_16x16x32_fp8_fp8 v[96:99], a[90:91], a[74:75], v[96:99]// 0000000060B4: D3F30060 1D82955A
	s_add_u32 s20, s57, s20                                    // 0000000060BC: 80141439
	s_addc_u32 s21, 0, s21                                     // 0000000060C0: 82151580
	v_mfma_f32_16x16x32_fp8_fp8 v[96:99], a[92:93], a[76:77], v[96:99]// 0000000060C4: D3F30060 1D82995C
	ds_read_b128 a[32:35], v2 offset:2048                      // 0000000060CC: DBFE0800 20000002
	ds_read_b128 a[36:39], v2 offset:2112                      // 0000000060D4: DBFE0840 24000002
	s_add_u32 s84, s83, s84                                    // 0000000060DC: 80545453
	s_addc_u32 s85, 0, s85                                     // 0000000060E0: 82555580
	v_mfma_f32_16x16x32_fp8_fp8 v[96:99], a[94:95], a[78:79], v[96:99]// 0000000060E4: D3F30060 1D829D5E
	s_addk_i32 s80, 0x80                                       // 0000000060EC: B7500080
	s_cmp_lt_i32 s80, s81                                      // 0000000060F0: BF045150
	s_cbranch_scc0 label_0DC2                                  // 0000000060F4: BF840001
	s_branch label_0C6B                                        // 0000000060F8: BF82FEA9

00000000000060fc <label_0DC2>:
	v_mul_f32_dpp v60, v24, v60 row_newbcast:0 row_mask:0xf bank_mask:0xf// 0000000060FC: 0A7878FA FF015018
	v_mul_f32_dpp v61, v24, v61 row_newbcast:1 row_mask:0xf bank_mask:0xf// 000000006104: 0A7A7AFA FF015118
	v_mul_f32_dpp v62, v24, v62 row_newbcast:2 row_mask:0xf bank_mask:0xf// 00000000610C: 0A7C7CFA FF015218
	v_mul_f32_dpp v63, v24, v63 row_newbcast:3 row_mask:0xf bank_mask:0xf// 000000006114: 0A7E7EFA FF015318
	v_mul_f32_dpp v64, v24, v64 row_newbcast:0 row_mask:0xf bank_mask:0xf// 00000000611C: 0A8080FA FF015018
	v_mul_f32_dpp v65, v24, v65 row_newbcast:1 row_mask:0xf bank_mask:0xf// 000000006124: 0A8282FA FF015118
	v_mul_f32_dpp v66, v24, v66 row_newbcast:2 row_mask:0xf bank_mask:0xf// 00000000612C: 0A8484FA FF015218
	v_mul_f32_dpp v67, v24, v67 row_newbcast:3 row_mask:0xf bank_mask:0xf// 000000006134: 0A8686FA FF015318
	v_mul_f32_dpp v68, v24, v68 row_newbcast:0 row_mask:0xf bank_mask:0xf// 00000000613C: 0A8888FA FF015018
	v_mul_f32_dpp v69, v24, v69 row_newbcast:1 row_mask:0xf bank_mask:0xf// 000000006144: 0A8A8AFA FF015118
	v_mul_f32_dpp v70, v24, v70 row_newbcast:2 row_mask:0xf bank_mask:0xf// 00000000614C: 0A8C8CFA FF015218
	v_mul_f32_dpp v71, v24, v71 row_newbcast:3 row_mask:0xf bank_mask:0xf// 000000006154: 0A8E8EFA FF015318
	v_mul_f32_dpp v72, v24, v72 row_newbcast:0 row_mask:0xf bank_mask:0xf// 00000000615C: 0A9090FA FF015018
	v_mul_f32_dpp v73, v24, v73 row_newbcast:1 row_mask:0xf bank_mask:0xf// 000000006164: 0A9292FA FF015118
	v_mul_f32_dpp v74, v24, v74 row_newbcast:2 row_mask:0xf bank_mask:0xf// 00000000616C: 0A9494FA FF015218
	v_mul_f32_dpp v75, v24, v75 row_newbcast:3 row_mask:0xf bank_mask:0xf// 000000006174: 0A9696FA FF015318
	v_mul_f32_dpp v76, v24, v76 row_newbcast:0 row_mask:0xf bank_mask:0xf// 00000000617C: 0A9898FA FF015018
	v_mul_f32_dpp v77, v24, v77 row_newbcast:1 row_mask:0xf bank_mask:0xf// 000000006184: 0A9A9AFA FF015118
	v_mul_f32_dpp v78, v24, v78 row_newbcast:2 row_mask:0xf bank_mask:0xf// 00000000618C: 0A9C9CFA FF015218
	v_mul_f32_dpp v79, v24, v79 row_newbcast:3 row_mask:0xf bank_mask:0xf// 000000006194: 0A9E9EFA FF015318
	v_mul_f32_dpp v80, v26, v80 row_newbcast:0 row_mask:0xf bank_mask:0xf// 00000000619C: 0AA0A0FA FF01501A
	v_mul_f32_dpp v81, v26, v81 row_newbcast:1 row_mask:0xf bank_mask:0xf// 0000000061A4: 0AA2A2FA FF01511A
	v_mul_f32_dpp v82, v26, v82 row_newbcast:2 row_mask:0xf bank_mask:0xf// 0000000061AC: 0AA4A4FA FF01521A
	v_mul_f32_dpp v83, v26, v83 row_newbcast:3 row_mask:0xf bank_mask:0xf// 0000000061B4: 0AA6A6FA FF01531A
	v_mul_f32_dpp v84, v26, v84 row_newbcast:0 row_mask:0xf bank_mask:0xf// 0000000061BC: 0AA8A8FA FF01501A
	v_mul_f32_dpp v85, v26, v85 row_newbcast:1 row_mask:0xf bank_mask:0xf// 0000000061C4: 0AAAAAFA FF01511A
	v_mul_f32_dpp v86, v26, v86 row_newbcast:2 row_mask:0xf bank_mask:0xf// 0000000061CC: 0AACACFA FF01521A
	v_mul_f32_dpp v87, v26, v87 row_newbcast:3 row_mask:0xf bank_mask:0xf// 0000000061D4: 0AAEAEFA FF01531A
	v_mul_f32_dpp v88, v26, v88 row_newbcast:0 row_mask:0xf bank_mask:0xf// 0000000061DC: 0AB0B0FA FF01501A
	v_mul_f32_dpp v89, v26, v89 row_newbcast:1 row_mask:0xf bank_mask:0xf// 0000000061E4: 0AB2B2FA FF01511A
	v_mul_f32_dpp v90, v26, v90 row_newbcast:2 row_mask:0xf bank_mask:0xf// 0000000061EC: 0AB4B4FA FF01521A
	v_mul_f32_dpp v91, v26, v91 row_newbcast:3 row_mask:0xf bank_mask:0xf// 0000000061F4: 0AB6B6FA FF01531A
	v_mul_f32_dpp v92, v26, v92 row_newbcast:0 row_mask:0xf bank_mask:0xf// 0000000061FC: 0AB8B8FA FF01501A
	v_mul_f32_dpp v93, v26, v93 row_newbcast:1 row_mask:0xf bank_mask:0xf// 000000006204: 0ABABAFA FF01511A
	v_mul_f32_dpp v94, v26, v94 row_newbcast:2 row_mask:0xf bank_mask:0xf// 00000000620C: 0ABCBCFA FF01521A
	v_mul_f32_dpp v95, v26, v95 row_newbcast:3 row_mask:0xf bank_mask:0xf// 000000006214: 0ABEBEFA FF01531A
	v_mul_f32_dpp v96, v26, v96 row_newbcast:0 row_mask:0xf bank_mask:0xf// 00000000621C: 0AC0C0FA FF01501A
	v_mul_f32_dpp v97, v26, v97 row_newbcast:1 row_mask:0xf bank_mask:0xf// 000000006224: 0AC2C2FA FF01511A
	v_mul_f32_dpp v98, v26, v98 row_newbcast:2 row_mask:0xf bank_mask:0xf// 00000000622C: 0AC4C4FA FF01521A
	v_mul_f32_dpp v99, v26, v99 row_newbcast:3 row_mask:0xf bank_mask:0xf// 000000006234: 0AC6C6FA FF01531A
	v_mov_b32_e32 v4, v33                                      // 00000000623C: 7E080321
	v_mov_b32_e32 v5, v4                                       // 000000006240: 7E0A0304
	v_pk_mul_f32 v[60:61], v[4:5], v[60:61]                    // 000000006244: D3B1403C 18027904
	v_pk_mul_f32 v[80:81], v[4:5], v[80:81]                    // 00000000624C: D3B14050 1802A104
	v_pk_mul_f32 v[62:63], v[4:5], v[62:63]                    // 000000006254: D3B1403E 18027D04
	v_pk_mul_f32 v[82:83], v[4:5], v[82:83]                    // 00000000625C: D3B14052 1802A504
	v_mov_b32_e32 v4, v34                                      // 000000006264: 7E080322
	v_mov_b32_e32 v5, v4                                       // 000000006268: 7E0A0304
	v_pk_mul_f32 v[64:65], v[4:5], v[64:65]                    // 00000000626C: D3B14040 18028104
	v_pk_mul_f32 v[84:85], v[4:5], v[84:85]                    // 000000006274: D3B14054 1802A904
	v_pk_mul_f32 v[66:67], v[4:5], v[66:67]                    // 00000000627C: D3B14042 18028504
	v_pk_mul_f32 v[86:87], v[4:5], v[86:87]                    // 000000006284: D3B14056 1802AD04
	v_mov_b32_e32 v4, v35                                      // 00000000628C: 7E080323
	v_mov_b32_e32 v5, v4                                       // 000000006290: 7E0A0304
	v_pk_mul_f32 v[68:69], v[4:5], v[68:69]                    // 000000006294: D3B14044 18028904
	v_pk_mul_f32 v[88:89], v[4:5], v[88:89]                    // 00000000629C: D3B14058 1802B104
	v_pk_mul_f32 v[70:71], v[4:5], v[70:71]                    // 0000000062A4: D3B14046 18028D04
	v_pk_mul_f32 v[90:91], v[4:5], v[90:91]                    // 0000000062AC: D3B1405A 1802B504
	v_mov_b32_e32 v4, v36                                      // 0000000062B4: 7E080324
	v_mov_b32_e32 v5, v4                                       // 0000000062B8: 7E0A0304
	v_pk_mul_f32 v[72:73], v[4:5], v[72:73]                    // 0000000062BC: D3B14048 18029104
	v_pk_mul_f32 v[92:93], v[4:5], v[92:93]                    // 0000000062C4: D3B1405C 1802B904
	v_pk_mul_f32 v[74:75], v[4:5], v[74:75]                    // 0000000062CC: D3B1404A 18029504
	v_pk_mul_f32 v[94:95], v[4:5], v[94:95]                    // 0000000062D4: D3B1405E 1802BD04
	v_mov_b32_e32 v4, v37                                      // 0000000062DC: 7E080325
	v_mov_b32_e32 v5, v4                                       // 0000000062E0: 7E0A0304
	v_pk_mul_f32 v[76:77], v[4:5], v[76:77]                    // 0000000062E4: D3B1404C 18029904
	v_pk_mul_f32 v[96:97], v[4:5], v[96:97]                    // 0000000062EC: D3B14060 1802C104
	v_pk_mul_f32 v[78:79], v[4:5], v[78:79]                    // 0000000062F4: D3B1404E 18029D04
	v_pk_mul_f32 v[98:99], v[4:5], v[98:99]                    // 0000000062FC: D3B14062 1802C504
	s_cmp_eq_u32 s88, 0                                        // 000000006304: BF068058
	s_cbranch_scc0 label_1209                                  // 000000006308: BF8403C3
	s_cmp_eq_u32 s89, 0                                        // 00000000630C: BF068059
	s_cbranch_scc1 label_0F15                                  // 000000006310: BF8500CD
	v_mov_b32_e32 v8, v1                                       // 000000006314: 7E100301
	v_mov_b32_e32 v9, v1                                       // 000000006318: 7E120301
	s_mov_b32 s60, s6                                          // 00000000631C: BEBC0006
	s_mov_b32 s61, s6                                          // 000000006320: BEBD0006
	v_pk_mul_f32 v[4:5], v[60:61], v[60:61]                    // 000000006324: D3B14004 1802793C
	v_pk_mul_f32 v[6:7], v[62:63], v[62:63]                    // 00000000632C: D3B14006 18027D3E
	v_pk_fma_f32 v[4:5], v[4:5], s[78:79], v[8:9]              // 000000006334: D3B04004 1C209D04
	v_pk_fma_f32 v[6:7], v[6:7], s[78:79], v[8:9]              // 00000000633C: D3B04006 1C209D06
	v_pk_mul_f32 v[4:5], v[4:5], v[60:61]                      // 000000006344: D3B14004 18027904
	v_pk_mul_f32 v[6:7], v[6:7], v[62:63]                      // 00000000634C: D3B14006 18027D06
	v_pk_mul_f32 v[4:5], v[4:5], s[60:61]                      // 000000006354: D3B14004 18007904
	v_pk_mul_f32 v[6:7], v[6:7], s[60:61]                      // 00000000635C: D3B14006 18007906
	v_exp_f32_e32 v4, v4                                       // 000000006364: 7E084104
	v_exp_f32_e32 v5, v5                                       // 000000006368: 7E0A4105
	v_exp_f32_e32 v6, v6                                       // 00000000636C: 7E0C4106
	v_exp_f32_e32 v7, v7                                       // 000000006370: 7E0E4107
	v_add_f32_e64 v4, v4, 1.0                                  // 000000006374: D1010004 0001E504
	v_add_f32_e64 v5, v5, 1.0                                  // 00000000637C: D1010005 0001E505
	v_add_f32_e64 v6, v6, 1.0                                  // 000000006384: D1010006 0001E506
	v_add_f32_e64 v7, v7, 1.0                                  // 00000000638C: D1010007 0001E507
	v_rcp_f32_e32 v4, v4                                       // 000000006394: 7E084504
	v_rcp_f32_e32 v5, v5                                       // 000000006398: 7E0A4505
	v_rcp_f32_e32 v6, v6                                       // 00000000639C: 7E0C4506
	v_rcp_f32_e32 v7, v7                                       // 0000000063A0: 7E0E4507
	v_mul_f32_e32 v60, v60, v4                                 // 0000000063A4: 0A78093C
	v_mul_f32_e32 v61, v61, v5                                 // 0000000063A8: 0A7A0B3D
	v_mul_f32_e32 v62, v62, v6                                 // 0000000063AC: 0A7C0D3E
	v_mul_f32_e32 v63, v63, v7                                 // 0000000063B0: 0A7E0F3F
	v_mul_f32_e32 v60, v60, v80                                // 0000000063B4: 0A78A13C
	v_mul_f32_e32 v61, v61, v81                                // 0000000063B8: 0A7AA33D
	v_mul_f32_e32 v62, v62, v82                                // 0000000063BC: 0A7CA53E
	v_mul_f32_e32 v63, v63, v83                                // 0000000063C0: 0A7EA73F
	v_pk_mul_f32 v[4:5], v[64:65], v[64:65]                    // 0000000063C4: D3B14004 18028140
	v_pk_mul_f32 v[6:7], v[66:67], v[66:67]                    // 0000000063CC: D3B14006 18028542
	v_pk_fma_f32 v[4:5], v[4:5], s[78:79], v[8:9]              // 0000000063D4: D3B04004 1C209D04
	v_pk_fma_f32 v[6:7], v[6:7], s[78:79], v[8:9]              // 0000000063DC: D3B04006 1C209D06
	v_pk_mul_f32 v[4:5], v[4:5], v[64:65]                      // 0000000063E4: D3B14004 18028104
	v_pk_mul_f32 v[6:7], v[6:7], v[66:67]                      // 0000000063EC: D3B14006 18028506
	v_pk_mul_f32 v[4:5], v[4:5], s[60:61]                      // 0000000063F4: D3B14004 18007904
	v_pk_mul_f32 v[6:7], v[6:7], s[60:61]                      // 0000000063FC: D3B14006 18007906
	v_exp_f32_e32 v4, v4                                       // 000000006404: 7E084104
	v_exp_f32_e32 v5, v5                                       // 000000006408: 7E0A4105
	v_exp_f32_e32 v6, v6                                       // 00000000640C: 7E0C4106
	v_exp_f32_e32 v7, v7                                       // 000000006410: 7E0E4107
	v_add_f32_e64 v4, v4, 1.0                                  // 000000006414: D1010004 0001E504
	v_add_f32_e64 v5, v5, 1.0                                  // 00000000641C: D1010005 0001E505
	v_add_f32_e64 v6, v6, 1.0                                  // 000000006424: D1010006 0001E506
	v_add_f32_e64 v7, v7, 1.0                                  // 00000000642C: D1010007 0001E507
	v_rcp_f32_e32 v4, v4                                       // 000000006434: 7E084504
	v_rcp_f32_e32 v5, v5                                       // 000000006438: 7E0A4505
	v_rcp_f32_e32 v6, v6                                       // 00000000643C: 7E0C4506
	v_rcp_f32_e32 v7, v7                                       // 000000006440: 7E0E4507
	v_mul_f32_e32 v64, v64, v4                                 // 000000006444: 0A800940
	v_mul_f32_e32 v65, v65, v5                                 // 000000006448: 0A820B41
	v_mul_f32_e32 v66, v66, v6                                 // 00000000644C: 0A840D42
	v_mul_f32_e32 v67, v67, v7                                 // 000000006450: 0A860F43
	v_mul_f32_e32 v64, v64, v84                                // 000000006454: 0A80A940
	v_mul_f32_e32 v65, v65, v85                                // 000000006458: 0A82AB41
	v_mul_f32_e32 v66, v66, v86                                // 00000000645C: 0A84AD42
	v_mul_f32_e32 v67, v67, v87                                // 000000006460: 0A86AF43
	v_pk_mul_f32 v[4:5], v[68:69], v[68:69]                    // 000000006464: D3B14004 18028944
	v_pk_mul_f32 v[6:7], v[70:71], v[70:71]                    // 00000000646C: D3B14006 18028D46
	v_pk_fma_f32 v[4:5], v[4:5], s[78:79], v[8:9]              // 000000006474: D3B04004 1C209D04
	v_pk_fma_f32 v[6:7], v[6:7], s[78:79], v[8:9]              // 00000000647C: D3B04006 1C209D06
	v_pk_mul_f32 v[4:5], v[4:5], v[68:69]                      // 000000006484: D3B14004 18028904
	v_pk_mul_f32 v[6:7], v[6:7], v[70:71]                      // 00000000648C: D3B14006 18028D06
	v_pk_mul_f32 v[4:5], v[4:5], s[60:61]                      // 000000006494: D3B14004 18007904
	v_pk_mul_f32 v[6:7], v[6:7], s[60:61]                      // 00000000649C: D3B14006 18007906
	v_exp_f32_e32 v4, v4                                       // 0000000064A4: 7E084104
	v_exp_f32_e32 v5, v5                                       // 0000000064A8: 7E0A4105
	v_exp_f32_e32 v6, v6                                       // 0000000064AC: 7E0C4106
	v_exp_f32_e32 v7, v7                                       // 0000000064B0: 7E0E4107
	v_add_f32_e64 v4, v4, 1.0                                  // 0000000064B4: D1010004 0001E504
	v_add_f32_e64 v5, v5, 1.0                                  // 0000000064BC: D1010005 0001E505
	v_add_f32_e64 v6, v6, 1.0                                  // 0000000064C4: D1010006 0001E506
	v_add_f32_e64 v7, v7, 1.0                                  // 0000000064CC: D1010007 0001E507
	v_rcp_f32_e32 v4, v4                                       // 0000000064D4: 7E084504
	v_rcp_f32_e32 v5, v5                                       // 0000000064D8: 7E0A4505
	v_rcp_f32_e32 v6, v6                                       // 0000000064DC: 7E0C4506
	v_rcp_f32_e32 v7, v7                                       // 0000000064E0: 7E0E4507
	v_mul_f32_e32 v68, v68, v4                                 // 0000000064E4: 0A880944
	v_mul_f32_e32 v69, v69, v5                                 // 0000000064E8: 0A8A0B45
	v_mul_f32_e32 v70, v70, v6                                 // 0000000064EC: 0A8C0D46
	v_mul_f32_e32 v71, v71, v7                                 // 0000000064F0: 0A8E0F47
	v_mul_f32_e32 v68, v68, v88                                // 0000000064F4: 0A88B144
	v_mul_f32_e32 v69, v69, v89                                // 0000000064F8: 0A8AB345
	v_mul_f32_e32 v70, v70, v90                                // 0000000064FC: 0A8CB546
	v_mul_f32_e32 v71, v71, v91                                // 000000006500: 0A8EB747
	v_pk_mul_f32 v[4:5], v[72:73], v[72:73]                    // 000000006504: D3B14004 18029148
	v_pk_mul_f32 v[6:7], v[74:75], v[74:75]                    // 00000000650C: D3B14006 1802954A
	v_pk_fma_f32 v[4:5], v[4:5], s[78:79], v[8:9]              // 000000006514: D3B04004 1C209D04
	v_pk_fma_f32 v[6:7], v[6:7], s[78:79], v[8:9]              // 00000000651C: D3B04006 1C209D06
	v_pk_mul_f32 v[4:5], v[4:5], v[72:73]                      // 000000006524: D3B14004 18029104
	v_pk_mul_f32 v[6:7], v[6:7], v[74:75]                      // 00000000652C: D3B14006 18029506
	v_pk_mul_f32 v[4:5], v[4:5], s[60:61]                      // 000000006534: D3B14004 18007904
	v_pk_mul_f32 v[6:7], v[6:7], s[60:61]                      // 00000000653C: D3B14006 18007906
	v_exp_f32_e32 v4, v4                                       // 000000006544: 7E084104
	v_exp_f32_e32 v5, v5                                       // 000000006548: 7E0A4105
	v_exp_f32_e32 v6, v6                                       // 00000000654C: 7E0C4106
	v_exp_f32_e32 v7, v7                                       // 000000006550: 7E0E4107
	v_add_f32_e64 v4, v4, 1.0                                  // 000000006554: D1010004 0001E504
	v_add_f32_e64 v5, v5, 1.0                                  // 00000000655C: D1010005 0001E505
	v_add_f32_e64 v6, v6, 1.0                                  // 000000006564: D1010006 0001E506
	v_add_f32_e64 v7, v7, 1.0                                  // 00000000656C: D1010007 0001E507
	v_rcp_f32_e32 v4, v4                                       // 000000006574: 7E084504
	v_rcp_f32_e32 v5, v5                                       // 000000006578: 7E0A4505
	v_rcp_f32_e32 v6, v6                                       // 00000000657C: 7E0C4506
	v_rcp_f32_e32 v7, v7                                       // 000000006580: 7E0E4507
	v_mul_f32_e32 v72, v72, v4                                 // 000000006584: 0A900948
	v_mul_f32_e32 v73, v73, v5                                 // 000000006588: 0A920B49
	v_mul_f32_e32 v74, v74, v6                                 // 00000000658C: 0A940D4A
	v_mul_f32_e32 v75, v75, v7                                 // 000000006590: 0A960F4B
	v_mul_f32_e32 v72, v72, v92                                // 000000006594: 0A90B948
	v_mul_f32_e32 v73, v73, v93                                // 000000006598: 0A92BB49
	v_mul_f32_e32 v74, v74, v94                                // 00000000659C: 0A94BD4A
	v_mul_f32_e32 v75, v75, v95                                // 0000000065A0: 0A96BF4B
	v_pk_mul_f32 v[4:5], v[76:77], v[76:77]                    // 0000000065A4: D3B14004 1802994C
	v_pk_mul_f32 v[6:7], v[78:79], v[78:79]                    // 0000000065AC: D3B14006 18029D4E
	v_pk_fma_f32 v[4:5], v[4:5], s[78:79], v[8:9]              // 0000000065B4: D3B04004 1C209D04
	v_pk_fma_f32 v[6:7], v[6:7], s[78:79], v[8:9]              // 0000000065BC: D3B04006 1C209D06
	v_pk_mul_f32 v[4:5], v[4:5], v[76:77]                      // 0000000065C4: D3B14004 18029904
	v_pk_mul_f32 v[6:7], v[6:7], v[78:79]                      // 0000000065CC: D3B14006 18029D06
	v_pk_mul_f32 v[4:5], v[4:5], s[60:61]                      // 0000000065D4: D3B14004 18007904
	v_pk_mul_f32 v[6:7], v[6:7], s[60:61]                      // 0000000065DC: D3B14006 18007906
	v_exp_f32_e32 v4, v4                                       // 0000000065E4: 7E084104
	v_exp_f32_e32 v5, v5                                       // 0000000065E8: 7E0A4105
	v_exp_f32_e32 v6, v6                                       // 0000000065EC: 7E0C4106
	v_exp_f32_e32 v7, v7                                       // 0000000065F0: 7E0E4107
	v_add_f32_e64 v4, v4, 1.0                                  // 0000000065F4: D1010004 0001E504
	v_add_f32_e64 v5, v5, 1.0                                  // 0000000065FC: D1010005 0001E505
	v_add_f32_e64 v6, v6, 1.0                                  // 000000006604: D1010006 0001E506
	v_add_f32_e64 v7, v7, 1.0                                  // 00000000660C: D1010007 0001E507
	v_rcp_f32_e32 v4, v4                                       // 000000006614: 7E084504
	v_rcp_f32_e32 v5, v5                                       // 000000006618: 7E0A4505
	v_rcp_f32_e32 v6, v6                                       // 00000000661C: 7E0C4506
	v_rcp_f32_e32 v7, v7                                       // 000000006620: 7E0E4507
	v_mul_f32_e32 v76, v76, v4                                 // 000000006624: 0A98094C
	v_mul_f32_e32 v77, v77, v5                                 // 000000006628: 0A9A0B4D
	v_mul_f32_e32 v78, v78, v6                                 // 00000000662C: 0A9C0D4E
	v_mul_f32_e32 v79, v79, v7                                 // 000000006630: 0A9E0F4F
	v_mul_f32_e32 v76, v76, v96                                // 000000006634: 0A98C14C
	v_mul_f32_e32 v77, v77, v97                                // 000000006638: 0A9AC34D
	v_mul_f32_e32 v78, v78, v98                                // 00000000663C: 0A9CC54E
	v_mul_f32_e32 v79, v79, v99                                // 000000006640: 0A9EC74F
	s_branch label_0FB5                                        // 000000006644: BF8200A0

0000000000006648 <label_0F15>:
	v_mul_f32_e64 v4, -v60, s6                                 // 000000006648: D1050004 20000D3C
	v_mul_f32_e64 v5, -v61, s6                                 // 000000006650: D1050005 20000D3D
	v_mul_f32_e64 v6, -v62, s6                                 // 000000006658: D1050006 20000D3E
	v_mul_f32_e64 v7, -v63, s6                                 // 000000006660: D1050007 20000D3F
	v_exp_f32_e32 v4, v4                                       // 000000006668: 7E084104
	v_exp_f32_e32 v5, v5                                       // 00000000666C: 7E0A4105
	v_exp_f32_e32 v6, v6                                       // 000000006670: 7E0C4106
	v_exp_f32_e32 v7, v7                                       // 000000006674: 7E0E4107
	v_add_f32_e64 v4, v4, 1.0                                  // 000000006678: D1010004 0001E504
	v_add_f32_e64 v5, v5, 1.0                                  // 000000006680: D1010005 0001E505
	v_add_f32_e64 v6, v6, 1.0                                  // 000000006688: D1010006 0001E506
	v_add_f32_e64 v7, v7, 1.0                                  // 000000006690: D1010007 0001E507
	v_rcp_f32_e32 v4, v4                                       // 000000006698: 7E084504
	v_rcp_f32_e32 v5, v5                                       // 00000000669C: 7E0A4505
	v_rcp_f32_e32 v6, v6                                       // 0000000066A0: 7E0C4506
	v_rcp_f32_e32 v7, v7                                       // 0000000066A4: 7E0E4507
	v_mul_f32_e32 v60, v60, v4                                 // 0000000066A8: 0A78093C
	v_mul_f32_e32 v61, v61, v5                                 // 0000000066AC: 0A7A0B3D
	v_mul_f32_e32 v62, v62, v6                                 // 0000000066B0: 0A7C0D3E
	v_mul_f32_e32 v63, v63, v7                                 // 0000000066B4: 0A7E0F3F
	v_mul_f32_e32 v60, v60, v80                                // 0000000066B8: 0A78A13C
	v_mul_f32_e32 v61, v61, v81                                // 0000000066BC: 0A7AA33D
	v_mul_f32_e32 v62, v62, v82                                // 0000000066C0: 0A7CA53E
	v_mul_f32_e32 v63, v63, v83                                // 0000000066C4: 0A7EA73F
	v_mul_f32_e64 v4, -v64, s6                                 // 0000000066C8: D1050004 20000D40
	v_mul_f32_e64 v5, -v65, s6                                 // 0000000066D0: D1050005 20000D41
	v_mul_f32_e64 v6, -v66, s6                                 // 0000000066D8: D1050006 20000D42
	v_mul_f32_e64 v7, -v67, s6                                 // 0000000066E0: D1050007 20000D43
	v_exp_f32_e32 v4, v4                                       // 0000000066E8: 7E084104
	v_exp_f32_e32 v5, v5                                       // 0000000066EC: 7E0A4105
	v_exp_f32_e32 v6, v6                                       // 0000000066F0: 7E0C4106
	v_exp_f32_e32 v7, v7                                       // 0000000066F4: 7E0E4107
	v_add_f32_e64 v4, v4, 1.0                                  // 0000000066F8: D1010004 0001E504
	v_add_f32_e64 v5, v5, 1.0                                  // 000000006700: D1010005 0001E505
	v_add_f32_e64 v6, v6, 1.0                                  // 000000006708: D1010006 0001E506
	v_add_f32_e64 v7, v7, 1.0                                  // 000000006710: D1010007 0001E507
	v_rcp_f32_e32 v4, v4                                       // 000000006718: 7E084504
	v_rcp_f32_e32 v5, v5                                       // 00000000671C: 7E0A4505
	v_rcp_f32_e32 v6, v6                                       // 000000006720: 7E0C4506
	v_rcp_f32_e32 v7, v7                                       // 000000006724: 7E0E4507
	v_mul_f32_e32 v64, v64, v4                                 // 000000006728: 0A800940
	v_mul_f32_e32 v65, v65, v5                                 // 00000000672C: 0A820B41
	v_mul_f32_e32 v66, v66, v6                                 // 000000006730: 0A840D42
	v_mul_f32_e32 v67, v67, v7                                 // 000000006734: 0A860F43
	v_mul_f32_e32 v64, v64, v84                                // 000000006738: 0A80A940
	v_mul_f32_e32 v65, v65, v85                                // 00000000673C: 0A82AB41
	v_mul_f32_e32 v66, v66, v86                                // 000000006740: 0A84AD42
	v_mul_f32_e32 v67, v67, v87                                // 000000006744: 0A86AF43
	v_mul_f32_e64 v4, -v68, s6                                 // 000000006748: D1050004 20000D44
	v_mul_f32_e64 v5, -v69, s6                                 // 000000006750: D1050005 20000D45
	v_mul_f32_e64 v6, -v70, s6                                 // 000000006758: D1050006 20000D46
	v_mul_f32_e64 v7, -v71, s6                                 // 000000006760: D1050007 20000D47
	v_exp_f32_e32 v4, v4                                       // 000000006768: 7E084104
	v_exp_f32_e32 v5, v5                                       // 00000000676C: 7E0A4105
	v_exp_f32_e32 v6, v6                                       // 000000006770: 7E0C4106
	v_exp_f32_e32 v7, v7                                       // 000000006774: 7E0E4107
	v_add_f32_e64 v4, v4, 1.0                                  // 000000006778: D1010004 0001E504
	v_add_f32_e64 v5, v5, 1.0                                  // 000000006780: D1010005 0001E505
	v_add_f32_e64 v6, v6, 1.0                                  // 000000006788: D1010006 0001E506
	v_add_f32_e64 v7, v7, 1.0                                  // 000000006790: D1010007 0001E507
	v_rcp_f32_e32 v4, v4                                       // 000000006798: 7E084504
	v_rcp_f32_e32 v5, v5                                       // 00000000679C: 7E0A4505
	v_rcp_f32_e32 v6, v6                                       // 0000000067A0: 7E0C4506
	v_rcp_f32_e32 v7, v7                                       // 0000000067A4: 7E0E4507
	v_mul_f32_e32 v68, v68, v4                                 // 0000000067A8: 0A880944
	v_mul_f32_e32 v69, v69, v5                                 // 0000000067AC: 0A8A0B45
	v_mul_f32_e32 v70, v70, v6                                 // 0000000067B0: 0A8C0D46
	v_mul_f32_e32 v71, v71, v7                                 // 0000000067B4: 0A8E0F47
	v_mul_f32_e32 v68, v68, v88                                // 0000000067B8: 0A88B144
	v_mul_f32_e32 v69, v69, v89                                // 0000000067BC: 0A8AB345
	v_mul_f32_e32 v70, v70, v90                                // 0000000067C0: 0A8CB546
	v_mul_f32_e32 v71, v71, v91                                // 0000000067C4: 0A8EB747
	v_mul_f32_e64 v4, -v72, s6                                 // 0000000067C8: D1050004 20000D48
	v_mul_f32_e64 v5, -v73, s6                                 // 0000000067D0: D1050005 20000D49
	v_mul_f32_e64 v6, -v74, s6                                 // 0000000067D8: D1050006 20000D4A
	v_mul_f32_e64 v7, -v75, s6                                 // 0000000067E0: D1050007 20000D4B
	v_exp_f32_e32 v4, v4                                       // 0000000067E8: 7E084104
	v_exp_f32_e32 v5, v5                                       // 0000000067EC: 7E0A4105
	v_exp_f32_e32 v6, v6                                       // 0000000067F0: 7E0C4106
	v_exp_f32_e32 v7, v7                                       // 0000000067F4: 7E0E4107
	v_add_f32_e64 v4, v4, 1.0                                  // 0000000067F8: D1010004 0001E504
	v_add_f32_e64 v5, v5, 1.0                                  // 000000006800: D1010005 0001E505
	v_add_f32_e64 v6, v6, 1.0                                  // 000000006808: D1010006 0001E506
	v_add_f32_e64 v7, v7, 1.0                                  // 000000006810: D1010007 0001E507
	v_rcp_f32_e32 v4, v4                                       // 000000006818: 7E084504
	v_rcp_f32_e32 v5, v5                                       // 00000000681C: 7E0A4505
	v_rcp_f32_e32 v6, v6                                       // 000000006820: 7E0C4506
	v_rcp_f32_e32 v7, v7                                       // 000000006824: 7E0E4507
	v_mul_f32_e32 v72, v72, v4                                 // 000000006828: 0A900948
	v_mul_f32_e32 v73, v73, v5                                 // 00000000682C: 0A920B49
	v_mul_f32_e32 v74, v74, v6                                 // 000000006830: 0A940D4A
	v_mul_f32_e32 v75, v75, v7                                 // 000000006834: 0A960F4B
	v_mul_f32_e32 v72, v72, v92                                // 000000006838: 0A90B948
	v_mul_f32_e32 v73, v73, v93                                // 00000000683C: 0A92BB49
	v_mul_f32_e32 v74, v74, v94                                // 000000006840: 0A94BD4A
	v_mul_f32_e32 v75, v75, v95                                // 000000006844: 0A96BF4B
	v_mul_f32_e64 v4, -v76, s6                                 // 000000006848: D1050004 20000D4C
	v_mul_f32_e64 v5, -v77, s6                                 // 000000006850: D1050005 20000D4D
	v_mul_f32_e64 v6, -v78, s6                                 // 000000006858: D1050006 20000D4E
	v_mul_f32_e64 v7, -v79, s6                                 // 000000006860: D1050007 20000D4F
	v_exp_f32_e32 v4, v4                                       // 000000006868: 7E084104
	v_exp_f32_e32 v5, v5                                       // 00000000686C: 7E0A4105
	v_exp_f32_e32 v6, v6                                       // 000000006870: 7E0C4106
	v_exp_f32_e32 v7, v7                                       // 000000006874: 7E0E4107
	v_add_f32_e64 v4, v4, 1.0                                  // 000000006878: D1010004 0001E504
	v_add_f32_e64 v5, v5, 1.0                                  // 000000006880: D1010005 0001E505
	v_add_f32_e64 v6, v6, 1.0                                  // 000000006888: D1010006 0001E506
	v_add_f32_e64 v7, v7, 1.0                                  // 000000006890: D1010007 0001E507
	v_rcp_f32_e32 v4, v4                                       // 000000006898: 7E084504
	v_rcp_f32_e32 v5, v5                                       // 00000000689C: 7E0A4505
	v_rcp_f32_e32 v6, v6                                       // 0000000068A0: 7E0C4506
	v_rcp_f32_e32 v7, v7                                       // 0000000068A4: 7E0E4507
	v_mul_f32_e32 v76, v76, v4                                 // 0000000068A8: 0A98094C
	v_mul_f32_e32 v77, v77, v5                                 // 0000000068AC: 0A9A0B4D
	v_mul_f32_e32 v78, v78, v6                                 // 0000000068B0: 0A9C0D4E
	v_mul_f32_e32 v79, v79, v7                                 // 0000000068B4: 0A9E0F4F
	v_mul_f32_e32 v76, v76, v96                                // 0000000068B8: 0A98C14C
	v_mul_f32_e32 v77, v77, v97                                // 0000000068BC: 0A9AC34D
	v_mul_f32_e32 v78, v78, v98                                // 0000000068C0: 0A9CC54E
	v_mul_f32_e32 v79, v79, v99                                // 0000000068C4: 0A9EC74F

00000000000068c8 <label_0FB5>:
	v_cmp_u_f32_e64 s[46:47], v60, v60                         // 0000000068C8: D048002E 0002793C
	v_add3_u32 v16, v60, v19, 1                                // 0000000068D0: D1FF0010 0206273C
	v_cndmask_b32_e64 v4, v16, v18, s[46:47]                   // 0000000068D8: D1000004 00BA2510
	v_cmp_u_f32_e64 s[46:47], v61, v61                         // 0000000068E0: D048002E 00027B3D
	v_add3_u32 v16, v61, v19, 1                                // 0000000068E8: D1FF0010 0206273D
	v_cndmask_b32_e64 v5, v16, v18, s[46:47]                   // 0000000068F0: D1000005 00BA2510
	v_perm_b32 v60, v5, v4, s52                                // 0000000068F8: D1ED003C 00D20905
	v_cmp_u_f32_e64 s[46:47], v62, v62                         // 000000006900: D048002E 00027D3E
	v_add3_u32 v16, v62, v19, 1                                // 000000006908: D1FF0010 0206273E
	v_cndmask_b32_e64 v4, v16, v18, s[46:47]                   // 000000006910: D1000004 00BA2510
	v_cmp_u_f32_e64 s[46:47], v63, v63                         // 000000006918: D048002E 00027F3F
	v_add3_u32 v16, v63, v19, 1                                // 000000006920: D1FF0010 0206273F
	v_cndmask_b32_e64 v5, v16, v18, s[46:47]                   // 000000006928: D1000005 00BA2510
	v_perm_b32 v61, v5, v4, s52                                // 000000006930: D1ED003D 00D20905
	v_cmp_u_f32_e64 s[46:47], v64, v64                         // 000000006938: D048002E 00028140
	v_add3_u32 v16, v64, v19, 1                                // 000000006940: D1FF0010 02062740
	v_cndmask_b32_e64 v4, v16, v18, s[46:47]                   // 000000006948: D1000004 00BA2510
	v_cmp_u_f32_e64 s[46:47], v65, v65                         // 000000006950: D048002E 00028341
	v_add3_u32 v16, v65, v19, 1                                // 000000006958: D1FF0010 02062741
	v_cndmask_b32_e64 v5, v16, v18, s[46:47]                   // 000000006960: D1000005 00BA2510
	v_perm_b32 v62, v5, v4, s52                                // 000000006968: D1ED003E 00D20905
	v_cmp_u_f32_e64 s[46:47], v66, v66                         // 000000006970: D048002E 00028542
	v_add3_u32 v16, v66, v19, 1                                // 000000006978: D1FF0010 02062742
	v_cndmask_b32_e64 v4, v16, v18, s[46:47]                   // 000000006980: D1000004 00BA2510
	v_cmp_u_f32_e64 s[46:47], v67, v67                         // 000000006988: D048002E 00028743
	v_add3_u32 v16, v67, v19, 1                                // 000000006990: D1FF0010 02062743
	v_cndmask_b32_e64 v5, v16, v18, s[46:47]                   // 000000006998: D1000005 00BA2510
	v_perm_b32 v63, v5, v4, s52                                // 0000000069A0: D1ED003F 00D20905
	v_cmp_u_f32_e64 s[46:47], v68, v68                         // 0000000069A8: D048002E 00028944
	v_add3_u32 v16, v68, v19, 1                                // 0000000069B0: D1FF0010 02062744
	v_cndmask_b32_e64 v4, v16, v18, s[46:47]                   // 0000000069B8: D1000004 00BA2510
	v_cmp_u_f32_e64 s[46:47], v69, v69                         // 0000000069C0: D048002E 00028B45
	v_add3_u32 v16, v69, v19, 1                                // 0000000069C8: D1FF0010 02062745
	v_cndmask_b32_e64 v5, v16, v18, s[46:47]                   // 0000000069D0: D1000005 00BA2510
	v_perm_b32 v64, v5, v4, s52                                // 0000000069D8: D1ED0040 00D20905
	v_cmp_u_f32_e64 s[46:47], v70, v70                         // 0000000069E0: D048002E 00028D46
	v_add3_u32 v16, v70, v19, 1                                // 0000000069E8: D1FF0010 02062746
	v_cndmask_b32_e64 v4, v16, v18, s[46:47]                   // 0000000069F0: D1000004 00BA2510
	v_cmp_u_f32_e64 s[46:47], v71, v71                         // 0000000069F8: D048002E 00028F47
	v_add3_u32 v16, v71, v19, 1                                // 000000006A00: D1FF0010 02062747
	v_cndmask_b32_e64 v5, v16, v18, s[46:47]                   // 000000006A08: D1000005 00BA2510
	v_perm_b32 v65, v5, v4, s52                                // 000000006A10: D1ED0041 00D20905
	v_cmp_u_f32_e64 s[46:47], v72, v72                         // 000000006A18: D048002E 00029148
	v_add3_u32 v16, v72, v19, 1                                // 000000006A20: D1FF0010 02062748
	v_cndmask_b32_e64 v4, v16, v18, s[46:47]                   // 000000006A28: D1000004 00BA2510
	v_cmp_u_f32_e64 s[46:47], v73, v73                         // 000000006A30: D048002E 00029349
	v_add3_u32 v16, v73, v19, 1                                // 000000006A38: D1FF0010 02062749
	v_cndmask_b32_e64 v5, v16, v18, s[46:47]                   // 000000006A40: D1000005 00BA2510
	v_perm_b32 v66, v5, v4, s52                                // 000000006A48: D1ED0042 00D20905
	v_cmp_u_f32_e64 s[46:47], v74, v74                         // 000000006A50: D048002E 0002954A
	v_add3_u32 v16, v74, v19, 1                                // 000000006A58: D1FF0010 0206274A
	v_cndmask_b32_e64 v4, v16, v18, s[46:47]                   // 000000006A60: D1000004 00BA2510
	v_cmp_u_f32_e64 s[46:47], v75, v75                         // 000000006A68: D048002E 0002974B
	v_add3_u32 v16, v75, v19, 1                                // 000000006A70: D1FF0010 0206274B
	v_cndmask_b32_e64 v5, v16, v18, s[46:47]                   // 000000006A78: D1000005 00BA2510
	v_perm_b32 v67, v5, v4, s52                                // 000000006A80: D1ED0043 00D20905
	v_cmp_u_f32_e64 s[46:47], v76, v76                         // 000000006A88: D048002E 0002994C
	v_add3_u32 v16, v76, v19, 1                                // 000000006A90: D1FF0010 0206274C
	v_cndmask_b32_e64 v4, v16, v18, s[46:47]                   // 000000006A98: D1000004 00BA2510
	v_cmp_u_f32_e64 s[46:47], v77, v77                         // 000000006AA0: D048002E 00029B4D
	v_add3_u32 v16, v77, v19, 1                                // 000000006AA8: D1FF0010 0206274D
	v_cndmask_b32_e64 v5, v16, v18, s[46:47]                   // 000000006AB0: D1000005 00BA2510
	v_perm_b32 v68, v5, v4, s52                                // 000000006AB8: D1ED0044 00D20905
	v_cmp_u_f32_e64 s[46:47], v78, v78                         // 000000006AC0: D048002E 00029D4E
	v_add3_u32 v16, v78, v19, 1                                // 000000006AC8: D1FF0010 0206274E
	v_cndmask_b32_e64 v4, v16, v18, s[46:47]                   // 000000006AD0: D1000004 00BA2510
	v_cmp_u_f32_e64 s[46:47], v79, v79                         // 000000006AD8: D048002E 00029F4F
	v_add3_u32 v16, v79, v19, 1                                // 000000006AE0: D1FF0010 0206274F
	v_cndmask_b32_e64 v5, v16, v18, s[46:47]                   // 000000006AE8: D1000005 00BA2510
	v_perm_b32 v69, v5, v4, s52                                // 000000006AF0: D1ED0045 00D20905
	ds_write_b64 v20, v[60:61]                                 // 000000006AF8: D89A0000 00003C14
	ds_write_b64 v20, v[62:63] offset:2176                     // 000000006B00: D89A0880 00003E14
	ds_write_b64 v20, v[64:65] offset:4352                     // 000000006B08: D89A1100 00004014
	ds_write_b64 v20, v[66:67] offset:6528                     // 000000006B10: D89A1980 00004214
	ds_write_b64 v20, v[68:69] offset:8704                     // 000000006B18: D89A2200 00004414
	v_lshrrev_b32_e32 v4, 5, v0                                // 000000006B20: 20080085
	v_xor_b32_e32 v5, 1, v4                                    // 000000006B24: 2A0A0881
	s_mul_i32 s60, s65, 2                                      // 000000006B28: 923C8241
	s_cmp_eq_u32 s88, 0                                        // 000000006B2C: BF068058
	s_cselect_b32 s61, 1, 4                                    // 000000006B30: 853D8481
	s_mul_i32 s60, s61, s60                                    // 000000006B34: 923C3C3D
	v_readlane_b32 s82, v3, 0                                  // 000000006B38: D2890052 00010103
	s_lshr_b32 s61, s82, 24                                    // 000000006B40: 8F3D9852
	s_and_b32 s82, s82, 0xffffff                               // 000000006B44: 8652FF52 00FFFFFF
	s_mul_i32 s82, s82, s71                                    // 000000006B4C: 92524752
	s_mul_i32 s61, s60, s61                                    // 000000006B50: 923D3D3C
	s_add_u32 s82, s82, s61                                    // 000000006B54: 80523D52
	v_mul_lo_u32 v6, v5, s82                                   // 000000006B58: D2850006 0000A505
	v_readlane_b32 s82, v3, 1                                  // 000000006B60: D2890052 00010303
	s_lshr_b32 s61, s82, 24                                    // 000000006B68: 8F3D9852
	s_and_b32 s82, s82, 0xffffff                               // 000000006B6C: 8652FF52 00FFFFFF
	s_mul_i32 s82, s82, s71                                    // 000000006B74: 92524752
	s_mul_i32 s61, s60, s61                                    // 000000006B78: 923D3D3C
	s_add_u32 s82, s82, s61                                    // 000000006B7C: 80523D52
	v_mul_lo_u32 v7, v4, s82                                   // 000000006B80: D2850007 0000A504
	v_add_u32_e32 v48, v6, v7                                  // 000000006B88: 68600F06
	v_readlane_b32 s82, v3, 2                                  // 000000006B8C: D2890052 00010503
	s_lshr_b32 s61, s82, 24                                    // 000000006B94: 8F3D9852
	s_and_b32 s82, s82, 0xffffff                               // 000000006B98: 8652FF52 00FFFFFF
	s_mul_i32 s82, s82, s71                                    // 000000006BA0: 92524752
	s_mul_i32 s61, s60, s61                                    // 000000006BA4: 923D3D3C
	s_add_u32 s82, s82, s61                                    // 000000006BA8: 80523D52
	v_mul_lo_u32 v6, v5, s82                                   // 000000006BAC: D2850006 0000A505
	v_readlane_b32 s82, v3, 3                                  // 000000006BB4: D2890052 00010703
	s_lshr_b32 s61, s82, 24                                    // 000000006BBC: 8F3D9852
	s_and_b32 s82, s82, 0xffffff                               // 000000006BC0: 8652FF52 00FFFFFF
	s_mul_i32 s82, s82, s71                                    // 000000006BC8: 92524752
	s_mul_i32 s61, s60, s61                                    // 000000006BCC: 923D3D3C
	s_add_u32 s82, s82, s61                                    // 000000006BD0: 80523D52
	v_mul_lo_u32 v7, v4, s82                                   // 000000006BD4: D2850007 0000A504
	v_add_u32_e32 v49, v6, v7                                  // 000000006BDC: 68620F06
	v_readlane_b32 s82, v3, 4                                  // 000000006BE0: D2890052 00010903
	s_lshr_b32 s61, s82, 24                                    // 000000006BE8: 8F3D9852
	s_and_b32 s82, s82, 0xffffff                               // 000000006BEC: 8652FF52 00FFFFFF
	s_mul_i32 s82, s82, s71                                    // 000000006BF4: 92524752
	s_mul_i32 s61, s60, s61                                    // 000000006BF8: 923D3D3C
	s_add_u32 s82, s82, s61                                    // 000000006BFC: 80523D52
	v_mul_lo_u32 v6, v5, s82                                   // 000000006C00: D2850006 0000A505
	v_readlane_b32 s82, v3, 5                                  // 000000006C08: D2890052 00010B03
	s_lshr_b32 s61, s82, 24                                    // 000000006C10: 8F3D9852
	s_and_b32 s82, s82, 0xffffff                               // 000000006C14: 8652FF52 00FFFFFF
	s_mul_i32 s82, s82, s71                                    // 000000006C1C: 92524752
	s_mul_i32 s61, s60, s61                                    // 000000006C20: 923D3D3C
	s_add_u32 s82, s82, s61                                    // 000000006C24: 80523D52
	v_mul_lo_u32 v7, v4, s82                                   // 000000006C28: D2850007 0000A504
	v_add_u32_e32 v50, v6, v7                                  // 000000006C30: 68640F06
	v_readlane_b32 s82, v3, 6                                  // 000000006C34: D2890052 00010D03
	s_lshr_b32 s61, s82, 24                                    // 000000006C3C: 8F3D9852
	s_and_b32 s82, s82, 0xffffff                               // 000000006C40: 8652FF52 00FFFFFF
	s_mul_i32 s82, s82, s71                                    // 000000006C48: 92524752
	s_mul_i32 s61, s60, s61                                    // 000000006C4C: 923D3D3C
	s_add_u32 s82, s82, s61                                    // 000000006C50: 80523D52
	v_mul_lo_u32 v6, v5, s82                                   // 000000006C54: D2850006 0000A505
	v_readlane_b32 s82, v3, 7                                  // 000000006C5C: D2890052 00010F03
	s_lshr_b32 s61, s82, 24                                    // 000000006C64: 8F3D9852
	s_and_b32 s82, s82, 0xffffff                               // 000000006C68: 8652FF52 00FFFFFF
	s_mul_i32 s82, s82, s71                                    // 000000006C70: 92524752
	s_mul_i32 s61, s60, s61                                    // 000000006C74: 923D3D3C
	s_add_u32 s82, s82, s61                                    // 000000006C78: 80523D52
	v_mul_lo_u32 v7, v4, s82                                   // 000000006C7C: D2850007 0000A504
	v_add_u32_e32 v51, v6, v7                                  // 000000006C84: 68660F06
	v_readlane_b32 s82, v3, 8                                  // 000000006C88: D2890052 00011103
	s_lshr_b32 s61, s82, 24                                    // 000000006C90: 8F3D9852
	s_and_b32 s82, s82, 0xffffff                               // 000000006C94: 8652FF52 00FFFFFF
	s_mul_i32 s82, s82, s71                                    // 000000006C9C: 92524752
	s_mul_i32 s61, s60, s61                                    // 000000006CA0: 923D3D3C
	s_add_u32 s82, s82, s61                                    // 000000006CA4: 80523D52
	v_mul_lo_u32 v6, v5, s82                                   // 000000006CA8: D2850006 0000A505
	v_readlane_b32 s82, v3, 9                                  // 000000006CB0: D2890052 00011303
	s_lshr_b32 s61, s82, 24                                    // 000000006CB8: 8F3D9852
	s_and_b32 s82, s82, 0xffffff                               // 000000006CBC: 8652FF52 00FFFFFF
	s_mul_i32 s82, s82, s71                                    // 000000006CC4: 92524752
	s_mul_i32 s61, s60, s61                                    // 000000006CC8: 923D3D3C
	s_add_u32 s82, s82, s61                                    // 000000006CCC: 80523D52
	v_mul_lo_u32 v7, v4, s82                                   // 000000006CD0: D2850007 0000A504
	v_add_u32_e32 v52, v6, v7                                  // 000000006CD8: 68680F06
	v_readlane_b32 s82, v3, 10                                 // 000000006CDC: D2890052 00011503
	s_lshr_b32 s61, s82, 24                                    // 000000006CE4: 8F3D9852
	s_and_b32 s82, s82, 0xffffff                               // 000000006CE8: 8652FF52 00FFFFFF
	s_mul_i32 s82, s82, s71                                    // 000000006CF0: 92524752
	s_mul_i32 s61, s60, s61                                    // 000000006CF4: 923D3D3C
	s_add_u32 s82, s82, s61                                    // 000000006CF8: 80523D52
	v_mul_lo_u32 v6, v5, s82                                   // 000000006CFC: D2850006 0000A505
	v_readlane_b32 s82, v3, 11                                 // 000000006D04: D2890052 00011703
	s_lshr_b32 s61, s82, 24                                    // 000000006D0C: 8F3D9852
	s_and_b32 s82, s82, 0xffffff                               // 000000006D10: 8652FF52 00FFFFFF
	s_mul_i32 s82, s82, s71                                    // 000000006D18: 92524752
	s_mul_i32 s61, s60, s61                                    // 000000006D1C: 923D3D3C
	s_add_u32 s82, s82, s61                                    // 000000006D20: 80523D52
	v_mul_lo_u32 v7, v4, s82                                   // 000000006D24: D2850007 0000A504
	v_add_u32_e32 v53, v6, v7                                  // 000000006D2C: 686A0F06
	v_readlane_b32 s82, v3, 12                                 // 000000006D30: D2890052 00011903
	s_lshr_b32 s61, s82, 24                                    // 000000006D38: 8F3D9852
	s_and_b32 s82, s82, 0xffffff                               // 000000006D3C: 8652FF52 00FFFFFF
	s_mul_i32 s82, s82, s71                                    // 000000006D44: 92524752
	s_mul_i32 s61, s60, s61                                    // 000000006D48: 923D3D3C
	s_add_u32 s82, s82, s61                                    // 000000006D4C: 80523D52
	v_mul_lo_u32 v6, v5, s82                                   // 000000006D50: D2850006 0000A505
	v_readlane_b32 s82, v3, 13                                 // 000000006D58: D2890052 00011B03
	s_lshr_b32 s61, s82, 24                                    // 000000006D60: 8F3D9852
	s_and_b32 s82, s82, 0xffffff                               // 000000006D64: 8652FF52 00FFFFFF
	s_mul_i32 s82, s82, s71                                    // 000000006D6C: 92524752
	s_mul_i32 s61, s60, s61                                    // 000000006D70: 923D3D3C
	s_add_u32 s82, s82, s61                                    // 000000006D74: 80523D52
	v_mul_lo_u32 v7, v4, s82                                   // 000000006D78: D2850007 0000A504
	v_add_u32_e32 v54, v6, v7                                  // 000000006D80: 686C0F06
	v_readlane_b32 s82, v3, 14                                 // 000000006D84: D2890052 00011D03
	s_lshr_b32 s61, s82, 24                                    // 000000006D8C: 8F3D9852
	s_and_b32 s82, s82, 0xffffff                               // 000000006D90: 8652FF52 00FFFFFF
	s_mul_i32 s82, s82, s71                                    // 000000006D98: 92524752
	s_mul_i32 s61, s60, s61                                    // 000000006D9C: 923D3D3C
	s_add_u32 s82, s82, s61                                    // 000000006DA0: 80523D52
	v_mul_lo_u32 v6, v5, s82                                   // 000000006DA4: D2850006 0000A505
	v_readlane_b32 s82, v3, 15                                 // 000000006DAC: D2890052 00011F03
	s_lshr_b32 s61, s82, 24                                    // 000000006DB4: 8F3D9852
	s_and_b32 s82, s82, 0xffffff                               // 000000006DB8: 8652FF52 00FFFFFF
	s_mul_i32 s82, s82, s71                                    // 000000006DC0: 92524752
	s_mul_i32 s61, s60, s61                                    // 000000006DC4: 923D3D3C
	s_add_u32 s82, s82, s61                                    // 000000006DC8: 80523D52
	v_mul_lo_u32 v7, v4, s82                                   // 000000006DCC: D2850007 0000A504
	v_add_u32_e32 v55, v6, v7                                  // 000000006DD4: 686E0F06
	v_readlane_b32 s82, v3, 16                                 // 000000006DD8: D2890052 00012103
	s_lshr_b32 s61, s82, 24                                    // 000000006DE0: 8F3D9852
	s_and_b32 s82, s82, 0xffffff                               // 000000006DE4: 8652FF52 00FFFFFF
	s_mul_i32 s82, s82, s71                                    // 000000006DEC: 92524752
	s_mul_i32 s61, s60, s61                                    // 000000006DF0: 923D3D3C
	s_add_u32 s82, s82, s61                                    // 000000006DF4: 80523D52
	v_mul_lo_u32 v6, v5, s82                                   // 000000006DF8: D2850006 0000A505
	v_readlane_b32 s82, v3, 17                                 // 000000006E00: D2890052 00012303
	s_lshr_b32 s61, s82, 24                                    // 000000006E08: 8F3D9852
	s_and_b32 s82, s82, 0xffffff                               // 000000006E0C: 8652FF52 00FFFFFF
	s_mul_i32 s82, s82, s71                                    // 000000006E14: 92524752
	s_mul_i32 s61, s60, s61                                    // 000000006E18: 923D3D3C
	s_add_u32 s82, s82, s61                                    // 000000006E1C: 80523D52
	v_mul_lo_u32 v7, v4, s82                                   // 000000006E20: D2850007 0000A504
	v_add_u32_e32 v56, v6, v7                                  // 000000006E28: 68700F06
	v_readlane_b32 s82, v3, 18                                 // 000000006E2C: D2890052 00012503
	s_lshr_b32 s61, s82, 24                                    // 000000006E34: 8F3D9852
	s_and_b32 s82, s82, 0xffffff                               // 000000006E38: 8652FF52 00FFFFFF
	s_mul_i32 s82, s82, s71                                    // 000000006E40: 92524752
	s_mul_i32 s61, s60, s61                                    // 000000006E44: 923D3D3C
	s_add_u32 s82, s82, s61                                    // 000000006E48: 80523D52
	v_mul_lo_u32 v6, v5, s82                                   // 000000006E4C: D2850006 0000A505
	v_readlane_b32 s82, v3, 19                                 // 000000006E54: D2890052 00012703
	s_lshr_b32 s61, s82, 24                                    // 000000006E5C: 8F3D9852
	s_and_b32 s82, s82, 0xffffff                               // 000000006E60: 8652FF52 00FFFFFF
	s_mul_i32 s82, s82, s71                                    // 000000006E68: 92524752
	s_mul_i32 s61, s60, s61                                    // 000000006E6C: 923D3D3C
	s_add_u32 s82, s82, s61                                    // 000000006E70: 80523D52
	v_mul_lo_u32 v7, v4, s82                                   // 000000006E74: D2850007 0000A504
	v_add_u32_e32 v57, v6, v7                                  // 000000006E7C: 68720F06
	v_and_b32_e32 v4, 31, v0                                   // 000000006E80: 2608009F
	v_lshrrev_b32_e32 v4, 1, v4                                // 000000006E84: 20080881
	s_cmp_eq_u32 s88, 0                                        // 000000006E88: BF068058
	s_cselect_b32 s61, 2, 4                                    // 000000006E8C: 853D8482
	v_mul_lo_u32 v4, v4, s61                                   // 000000006E90: D2850004 00007B04
	v_and_b32_e64 v5, v0, 1                                    // 000000006E98: D1130005 00010300
	v_add_u32_e32 v4, v4, v5                                   // 000000006EA0: 68080B04
	v_lshlrev_b32_e32 v4, 2, v4                                // 000000006EA4: 24080882
	v_add_u32_e32 v48, v48, v4                                 // 000000006EA8: 68600930
	v_add_u32_e32 v49, v49, v4                                 // 000000006EAC: 68620931
	v_add_u32_e32 v50, v50, v4                                 // 000000006EB0: 68640932
	v_add_u32_e32 v51, v51, v4                                 // 000000006EB4: 68660933
	v_add_u32_e32 v52, v52, v4                                 // 000000006EB8: 68680934
	v_add_u32_e32 v53, v53, v4                                 // 000000006EBC: 686A0935
	v_add_u32_e32 v54, v54, v4                                 // 000000006EC0: 686C0936
	v_add_u32_e32 v55, v55, v4                                 // 000000006EC4: 686E0937
	v_add_u32_e32 v56, v56, v4                                 // 000000006EC8: 68700938
	v_add_u32_e32 v57, v57, v4                                 // 000000006ECC: 68720939
	s_waitcnt lgkmcnt(0)                                       // 000000006ED0: BF8CC07F
	s_barrier                                                  // 000000006ED4: BF8A0000
	ds_read_b32 v60, v21                                       // 000000006ED8: D86C0000 3C000015
	ds_read_b32 v61, v21 offset:64                             // 000000006EE0: D86C0040 3D000015
	ds_read_b32 v62, v21 offset:2176                           // 000000006EE8: D86C0880 3E000015
	ds_read_b32 v63, v21 offset:2240                           // 000000006EF0: D86C08C0 3F000015
	ds_read_b32 v64, v21 offset:4352                           // 000000006EF8: D86C1100 40000015
	ds_read_b32 v65, v21 offset:4416                           // 000000006F00: D86C1140 41000015
	ds_read_b32 v66, v21 offset:6528                           // 000000006F08: D86C1980 42000015
	ds_read_b32 v67, v21 offset:6592                           // 000000006F10: D86C19C0 43000015
	ds_read_b32 v68, v21 offset:8704                           // 000000006F18: D86C2200 44000015
	ds_read_b32 v69, v21 offset:8768                           // 000000006F20: D86C2240 45000015
	s_waitcnt lgkmcnt(0)                                       // 000000006F28: BF8CC07F
	s_mov_b32 s36, -1                                          // 000000006F2C: BEA400C1
	s_mov_b32 s37, -1                                          // 000000006F30: BEA500C1
	v_mov_b32_e32 v7, 0                                        // 000000006F34: 7E0E0280
	s_or_b32 s9, s9, 0x40000                                   // 000000006F38: 8709FF09 00040000
	s_mov_b64 exec, s[36:37]                                   // 000000006F40: BEFE0124
	v_mov_b32_e32 v6, v48                                      // 000000006F44: 7E0C0330
	s_mov_b64 s[60:61], 0                                      // 000000006F48: BEBC0180
	v_readlane_b32 s82, v3, 0                                  // 000000006F4C: D2890052 00010103
	s_and_b32 s82, s82, 0xffffff                               // 000000006F54: 8652FF52 00FFFFFF
	s_cmp_lt_u32 s82, s66                                      // 000000006F5C: BF0A4252
	s_cselect_b32 s20, s36, s60                                // 000000006F60: 85143C24
	v_readlane_b32 s82, v3, 1                                  // 000000006F64: D2890052 00010303
	s_and_b32 s82, s82, 0xffffff                               // 000000006F6C: 8652FF52 00FFFFFF
	s_cmp_lt_u32 s82, s66                                      // 000000006F74: BF0A4252
	s_cselect_b32 s21, s36, s60                                // 000000006F78: 85153C24
	s_mov_b64 exec, s[20:21]                                   // 000000006F7C: BEFE0114
	buffer_store_dword v60, v6, s[8:11], 0 offen               // 000000006F80: E0701000 80023C06
	s_mov_b64 exec, s[36:37]                                   // 000000006F88: BEFE0124
	v_mov_b32_e32 v6, v49                                      // 000000006F8C: 7E0C0331
	s_mov_b64 s[60:61], 0                                      // 000000006F90: BEBC0180
	v_readlane_b32 s82, v3, 2                                  // 000000006F94: D2890052 00010503
	s_and_b32 s82, s82, 0xffffff                               // 000000006F9C: 8652FF52 00FFFFFF
	s_cmp_lt_u32 s82, s66                                      // 000000006FA4: BF0A4252
	s_cselect_b32 s20, s36, s60                                // 000000006FA8: 85143C24
	v_readlane_b32 s82, v3, 3                                  // 000000006FAC: D2890052 00010703
	s_and_b32 s82, s82, 0xffffff                               // 000000006FB4: 8652FF52 00FFFFFF
	s_cmp_lt_u32 s82, s66                                      // 000000006FBC: BF0A4252
	s_cselect_b32 s21, s36, s60                                // 000000006FC0: 85153C24
	s_mov_b64 exec, s[20:21]                                   // 000000006FC4: BEFE0114
	buffer_store_dword v61, v6, s[8:11], 0 offen               // 000000006FC8: E0701000 80023D06
	s_mov_b64 exec, s[36:37]                                   // 000000006FD0: BEFE0124
	v_mov_b32_e32 v6, v50                                      // 000000006FD4: 7E0C0332
	s_mov_b64 s[60:61], 0                                      // 000000006FD8: BEBC0180
	v_readlane_b32 s82, v3, 4                                  // 000000006FDC: D2890052 00010903
	s_and_b32 s82, s82, 0xffffff                               // 000000006FE4: 8652FF52 00FFFFFF
	s_cmp_lt_u32 s82, s66                                      // 000000006FEC: BF0A4252
	s_cselect_b32 s20, s36, s60                                // 000000006FF0: 85143C24
	v_readlane_b32 s82, v3, 5                                  // 000000006FF4: D2890052 00010B03
	s_and_b32 s82, s82, 0xffffff                               // 000000006FFC: 8652FF52 00FFFFFF
	s_cmp_lt_u32 s82, s66                                      // 000000007004: BF0A4252
	s_cselect_b32 s21, s36, s60                                // 000000007008: 85153C24
	s_mov_b64 exec, s[20:21]                                   // 00000000700C: BEFE0114
	buffer_store_dword v62, v6, s[8:11], 0 offen               // 000000007010: E0701000 80023E06
	s_mov_b64 exec, s[36:37]                                   // 000000007018: BEFE0124
	v_mov_b32_e32 v6, v51                                      // 00000000701C: 7E0C0333
	s_mov_b64 s[60:61], 0                                      // 000000007020: BEBC0180
	v_readlane_b32 s82, v3, 6                                  // 000000007024: D2890052 00010D03
	s_and_b32 s82, s82, 0xffffff                               // 00000000702C: 8652FF52 00FFFFFF
	s_cmp_lt_u32 s82, s66                                      // 000000007034: BF0A4252
	s_cselect_b32 s20, s36, s60                                // 000000007038: 85143C24
	v_readlane_b32 s82, v3, 7                                  // 00000000703C: D2890052 00010F03
	s_and_b32 s82, s82, 0xffffff                               // 000000007044: 8652FF52 00FFFFFF
	s_cmp_lt_u32 s82, s66                                      // 00000000704C: BF0A4252
	s_cselect_b32 s21, s36, s60                                // 000000007050: 85153C24
	s_mov_b64 exec, s[20:21]                                   // 000000007054: BEFE0114
	buffer_store_dword v63, v6, s[8:11], 0 offen               // 000000007058: E0701000 80023F06
	s_mov_b64 exec, s[36:37]                                   // 000000007060: BEFE0124
	v_mov_b32_e32 v6, v52                                      // 000000007064: 7E0C0334
	s_mov_b64 s[60:61], 0                                      // 000000007068: BEBC0180
	v_readlane_b32 s82, v3, 8                                  // 00000000706C: D2890052 00011103
	s_and_b32 s82, s82, 0xffffff                               // 000000007074: 8652FF52 00FFFFFF
	s_cmp_lt_u32 s82, s66                                      // 00000000707C: BF0A4252
	s_cselect_b32 s20, s36, s60                                // 000000007080: 85143C24
	v_readlane_b32 s82, v3, 9                                  // 000000007084: D2890052 00011303
	s_and_b32 s82, s82, 0xffffff                               // 00000000708C: 8652FF52 00FFFFFF
	s_cmp_lt_u32 s82, s66                                      // 000000007094: BF0A4252
	s_cselect_b32 s21, s36, s60                                // 000000007098: 85153C24
	s_mov_b64 exec, s[20:21]                                   // 00000000709C: BEFE0114
	buffer_store_dword v64, v6, s[8:11], 0 offen               // 0000000070A0: E0701000 80024006
	s_mov_b64 exec, s[36:37]                                   // 0000000070A8: BEFE0124
	v_mov_b32_e32 v6, v53                                      // 0000000070AC: 7E0C0335
	s_mov_b64 s[60:61], 0                                      // 0000000070B0: BEBC0180
	v_readlane_b32 s82, v3, 10                                 // 0000000070B4: D2890052 00011503
	s_and_b32 s82, s82, 0xffffff                               // 0000000070BC: 8652FF52 00FFFFFF
	s_cmp_lt_u32 s82, s66                                      // 0000000070C4: BF0A4252
	s_cselect_b32 s20, s36, s60                                // 0000000070C8: 85143C24
	v_readlane_b32 s82, v3, 11                                 // 0000000070CC: D2890052 00011703
	s_and_b32 s82, s82, 0xffffff                               // 0000000070D4: 8652FF52 00FFFFFF
	s_cmp_lt_u32 s82, s66                                      // 0000000070DC: BF0A4252
	s_cselect_b32 s21, s36, s60                                // 0000000070E0: 85153C24
	s_mov_b64 exec, s[20:21]                                   // 0000000070E4: BEFE0114
	buffer_store_dword v65, v6, s[8:11], 0 offen               // 0000000070E8: E0701000 80024106
	s_mov_b64 exec, s[36:37]                                   // 0000000070F0: BEFE0124
	v_mov_b32_e32 v6, v54                                      // 0000000070F4: 7E0C0336
	s_mov_b64 s[60:61], 0                                      // 0000000070F8: BEBC0180
	v_readlane_b32 s82, v3, 12                                 // 0000000070FC: D2890052 00011903
	s_and_b32 s82, s82, 0xffffff                               // 000000007104: 8652FF52 00FFFFFF
	s_cmp_lt_u32 s82, s66                                      // 00000000710C: BF0A4252
	s_cselect_b32 s20, s36, s60                                // 000000007110: 85143C24
	v_readlane_b32 s82, v3, 13                                 // 000000007114: D2890052 00011B03
	s_and_b32 s82, s82, 0xffffff                               // 00000000711C: 8652FF52 00FFFFFF
	s_cmp_lt_u32 s82, s66                                      // 000000007124: BF0A4252
	s_cselect_b32 s21, s36, s60                                // 000000007128: 85153C24
	s_mov_b64 exec, s[20:21]                                   // 00000000712C: BEFE0114
	buffer_store_dword v66, v6, s[8:11], 0 offen               // 000000007130: E0701000 80024206
	s_mov_b64 exec, s[36:37]                                   // 000000007138: BEFE0124
	v_mov_b32_e32 v6, v55                                      // 00000000713C: 7E0C0337
	s_mov_b64 s[60:61], 0                                      // 000000007140: BEBC0180
	v_readlane_b32 s82, v3, 14                                 // 000000007144: D2890052 00011D03
	s_and_b32 s82, s82, 0xffffff                               // 00000000714C: 8652FF52 00FFFFFF
	s_cmp_lt_u32 s82, s66                                      // 000000007154: BF0A4252
	s_cselect_b32 s20, s36, s60                                // 000000007158: 85143C24
	v_readlane_b32 s82, v3, 15                                 // 00000000715C: D2890052 00011F03
	s_and_b32 s82, s82, 0xffffff                               // 000000007164: 8652FF52 00FFFFFF
	s_cmp_lt_u32 s82, s66                                      // 00000000716C: BF0A4252
	s_cselect_b32 s21, s36, s60                                // 000000007170: 85153C24
	s_mov_b64 exec, s[20:21]                                   // 000000007174: BEFE0114
	buffer_store_dword v67, v6, s[8:11], 0 offen               // 000000007178: E0701000 80024306
	s_mov_b64 exec, s[36:37]                                   // 000000007180: BEFE0124
	v_mov_b32_e32 v6, v56                                      // 000000007184: 7E0C0338
	s_mov_b64 s[60:61], 0                                      // 000000007188: BEBC0180
	v_readlane_b32 s82, v3, 16                                 // 00000000718C: D2890052 00012103
	s_and_b32 s82, s82, 0xffffff                               // 000000007194: 8652FF52 00FFFFFF
	s_cmp_lt_u32 s82, s66                                      // 00000000719C: BF0A4252
	s_cselect_b32 s20, s36, s60                                // 0000000071A0: 85143C24
	v_readlane_b32 s82, v3, 17                                 // 0000000071A4: D2890052 00012303
	s_and_b32 s82, s82, 0xffffff                               // 0000000071AC: 8652FF52 00FFFFFF
	s_cmp_lt_u32 s82, s66                                      // 0000000071B4: BF0A4252
	s_cselect_b32 s21, s36, s60                                // 0000000071B8: 85153C24
	s_mov_b64 exec, s[20:21]                                   // 0000000071BC: BEFE0114
	buffer_store_dword v68, v6, s[8:11], 0 offen               // 0000000071C0: E0701000 80024406
	s_mov_b64 exec, s[36:37]                                   // 0000000071C8: BEFE0124
	v_mov_b32_e32 v6, v57                                      // 0000000071CC: 7E0C0339
	s_mov_b64 s[60:61], 0                                      // 0000000071D0: BEBC0180
	v_readlane_b32 s82, v3, 18                                 // 0000000071D4: D2890052 00012503
	s_and_b32 s82, s82, 0xffffff                               // 0000000071DC: 8652FF52 00FFFFFF
	s_cmp_lt_u32 s82, s66                                      // 0000000071E4: BF0A4252
	s_cselect_b32 s20, s36, s60                                // 0000000071E8: 85143C24
	v_readlane_b32 s82, v3, 19                                 // 0000000071EC: D2890052 00012703
	s_and_b32 s82, s82, 0xffffff                               // 0000000071F4: 8652FF52 00FFFFFF
	s_cmp_lt_u32 s82, s66                                      // 0000000071FC: BF0A4252
	s_cselect_b32 s21, s36, s60                                // 000000007200: 85153C24
	s_mov_b64 exec, s[20:21]                                   // 000000007204: BEFE0114
	buffer_store_dword v69, v6, s[8:11], 0 offen               // 000000007208: E0701000 80024506
	s_mov_b64 exec, s[36:37]                                   // 000000007210: BEFE0124
	s_branch label_1657                                        // 000000007214: BF82044E

0000000000007218 <label_1209>:
	ds_write_b64 v20, v[60:61]                                 // 000000007218: D89A0000 00003C14
	ds_write_b64 v20, v[64:65] offset:2176                     // 000000007220: D89A0880 00004014
	ds_write_b64 v20, v[68:69] offset:4352                     // 000000007228: D89A1100 00004414
	ds_write_b64 v20, v[72:73] offset:6528                     // 000000007230: D89A1980 00004814
	ds_write_b64 v20, v[76:77] offset:8704                     // 000000007238: D89A2200 00004C14
	v_lshrrev_b32_e32 v4, 5, v0                                // 000000007240: 20080085
	v_xor_b32_e32 v5, 1, v4                                    // 000000007244: 2A0A0881
	s_mul_i32 s60, s65, 2                                      // 000000007248: 923C8241
	s_cmp_eq_u32 s88, 0                                        // 00000000724C: BF068058
	s_cselect_b32 s61, 1, 4                                    // 000000007250: 853D8481
	s_mul_i32 s60, s61, s60                                    // 000000007254: 923C3C3D
	v_readlane_b32 s82, v3, 0                                  // 000000007258: D2890052 00010103
	s_lshr_b32 s61, s82, 24                                    // 000000007260: 8F3D9852
	s_and_b32 s82, s82, 0xffffff                               // 000000007264: 8652FF52 00FFFFFF
	s_mul_i32 s82, s82, s71                                    // 00000000726C: 92524752
	s_mul_i32 s61, s60, s61                                    // 000000007270: 923D3D3C
	s_add_u32 s82, s82, s61                                    // 000000007274: 80523D52
	v_mul_lo_u32 v6, v5, s82                                   // 000000007278: D2850006 0000A505
	v_readlane_b32 s82, v3, 1                                  // 000000007280: D2890052 00010303
	s_lshr_b32 s61, s82, 24                                    // 000000007288: 8F3D9852
	s_and_b32 s82, s82, 0xffffff                               // 00000000728C: 8652FF52 00FFFFFF
	s_mul_i32 s82, s82, s71                                    // 000000007294: 92524752
	s_mul_i32 s61, s60, s61                                    // 000000007298: 923D3D3C
	s_add_u32 s82, s82, s61                                    // 00000000729C: 80523D52
	v_mul_lo_u32 v7, v4, s82                                   // 0000000072A0: D2850007 0000A504
	v_add_u32_e32 v48, v6, v7                                  // 0000000072A8: 68600F06
	v_readlane_b32 s82, v3, 2                                  // 0000000072AC: D2890052 00010503
	s_lshr_b32 s61, s82, 24                                    // 0000000072B4: 8F3D9852
	s_and_b32 s82, s82, 0xffffff                               // 0000000072B8: 8652FF52 00FFFFFF
	s_mul_i32 s82, s82, s71                                    // 0000000072C0: 92524752
	s_mul_i32 s61, s60, s61                                    // 0000000072C4: 923D3D3C
	s_add_u32 s82, s82, s61                                    // 0000000072C8: 80523D52
	v_mul_lo_u32 v6, v5, s82                                   // 0000000072CC: D2850006 0000A505
	v_readlane_b32 s82, v3, 3                                  // 0000000072D4: D2890052 00010703
	s_lshr_b32 s61, s82, 24                                    // 0000000072DC: 8F3D9852
	s_and_b32 s82, s82, 0xffffff                               // 0000000072E0: 8652FF52 00FFFFFF
	s_mul_i32 s82, s82, s71                                    // 0000000072E8: 92524752
	s_mul_i32 s61, s60, s61                                    // 0000000072EC: 923D3D3C
	s_add_u32 s82, s82, s61                                    // 0000000072F0: 80523D52
	v_mul_lo_u32 v7, v4, s82                                   // 0000000072F4: D2850007 0000A504
	v_add_u32_e32 v49, v6, v7                                  // 0000000072FC: 68620F06
	v_readlane_b32 s82, v3, 4                                  // 000000007300: D2890052 00010903
	s_lshr_b32 s61, s82, 24                                    // 000000007308: 8F3D9852
	s_and_b32 s82, s82, 0xffffff                               // 00000000730C: 8652FF52 00FFFFFF
	s_mul_i32 s82, s82, s71                                    // 000000007314: 92524752
	s_mul_i32 s61, s60, s61                                    // 000000007318: 923D3D3C
	s_add_u32 s82, s82, s61                                    // 00000000731C: 80523D52
	v_mul_lo_u32 v6, v5, s82                                   // 000000007320: D2850006 0000A505
	v_readlane_b32 s82, v3, 5                                  // 000000007328: D2890052 00010B03
	s_lshr_b32 s61, s82, 24                                    // 000000007330: 8F3D9852
	s_and_b32 s82, s82, 0xffffff                               // 000000007334: 8652FF52 00FFFFFF
	s_mul_i32 s82, s82, s71                                    // 00000000733C: 92524752
	s_mul_i32 s61, s60, s61                                    // 000000007340: 923D3D3C
	s_add_u32 s82, s82, s61                                    // 000000007344: 80523D52
	v_mul_lo_u32 v7, v4, s82                                   // 000000007348: D2850007 0000A504
	v_add_u32_e32 v50, v6, v7                                  // 000000007350: 68640F06
	v_readlane_b32 s82, v3, 6                                  // 000000007354: D2890052 00010D03
	s_lshr_b32 s61, s82, 24                                    // 00000000735C: 8F3D9852
	s_and_b32 s82, s82, 0xffffff                               // 000000007360: 8652FF52 00FFFFFF
	s_mul_i32 s82, s82, s71                                    // 000000007368: 92524752
	s_mul_i32 s61, s60, s61                                    // 00000000736C: 923D3D3C
	s_add_u32 s82, s82, s61                                    // 000000007370: 80523D52
	v_mul_lo_u32 v6, v5, s82                                   // 000000007374: D2850006 0000A505
	v_readlane_b32 s82, v3, 7                                  // 00000000737C: D2890052 00010F03
	s_lshr_b32 s61, s82, 24                                    // 000000007384: 8F3D9852
	s_and_b32 s82, s82, 0xffffff                               // 000000007388: 8652FF52 00FFFFFF
	s_mul_i32 s82, s82, s71                                    // 000000007390: 92524752
	s_mul_i32 s61, s60, s61                                    // 000000007394: 923D3D3C
	s_add_u32 s82, s82, s61                                    // 000000007398: 80523D52
	v_mul_lo_u32 v7, v4, s82                                   // 00000000739C: D2850007 0000A504
	v_add_u32_e32 v51, v6, v7                                  // 0000000073A4: 68660F06
	v_readlane_b32 s82, v3, 8                                  // 0000000073A8: D2890052 00011103
	s_lshr_b32 s61, s82, 24                                    // 0000000073B0: 8F3D9852
	s_and_b32 s82, s82, 0xffffff                               // 0000000073B4: 8652FF52 00FFFFFF
	s_mul_i32 s82, s82, s71                                    // 0000000073BC: 92524752
	s_mul_i32 s61, s60, s61                                    // 0000000073C0: 923D3D3C
	s_add_u32 s82, s82, s61                                    // 0000000073C4: 80523D52
	v_mul_lo_u32 v6, v5, s82                                   // 0000000073C8: D2850006 0000A505
	v_readlane_b32 s82, v3, 9                                  // 0000000073D0: D2890052 00011303
	s_lshr_b32 s61, s82, 24                                    // 0000000073D8: 8F3D9852
	s_and_b32 s82, s82, 0xffffff                               // 0000000073DC: 8652FF52 00FFFFFF
	s_mul_i32 s82, s82, s71                                    // 0000000073E4: 92524752
	s_mul_i32 s61, s60, s61                                    // 0000000073E8: 923D3D3C
	s_add_u32 s82, s82, s61                                    // 0000000073EC: 80523D52
	v_mul_lo_u32 v7, v4, s82                                   // 0000000073F0: D2850007 0000A504
	v_add_u32_e32 v52, v6, v7                                  // 0000000073F8: 68680F06
	v_readlane_b32 s82, v3, 10                                 // 0000000073FC: D2890052 00011503
	s_lshr_b32 s61, s82, 24                                    // 000000007404: 8F3D9852
	s_and_b32 s82, s82, 0xffffff                               // 000000007408: 8652FF52 00FFFFFF
	s_mul_i32 s82, s82, s71                                    // 000000007410: 92524752
	s_mul_i32 s61, s60, s61                                    // 000000007414: 923D3D3C
	s_add_u32 s82, s82, s61                                    // 000000007418: 80523D52
	v_mul_lo_u32 v6, v5, s82                                   // 00000000741C: D2850006 0000A505
	v_readlane_b32 s82, v3, 11                                 // 000000007424: D2890052 00011703
	s_lshr_b32 s61, s82, 24                                    // 00000000742C: 8F3D9852
	s_and_b32 s82, s82, 0xffffff                               // 000000007430: 8652FF52 00FFFFFF
	s_mul_i32 s82, s82, s71                                    // 000000007438: 92524752
	s_mul_i32 s61, s60, s61                                    // 00000000743C: 923D3D3C
	s_add_u32 s82, s82, s61                                    // 000000007440: 80523D52
	v_mul_lo_u32 v7, v4, s82                                   // 000000007444: D2850007 0000A504
	v_add_u32_e32 v53, v6, v7                                  // 00000000744C: 686A0F06
	v_readlane_b32 s82, v3, 12                                 // 000000007450: D2890052 00011903
	s_lshr_b32 s61, s82, 24                                    // 000000007458: 8F3D9852
	s_and_b32 s82, s82, 0xffffff                               // 00000000745C: 8652FF52 00FFFFFF
	s_mul_i32 s82, s82, s71                                    // 000000007464: 92524752
	s_mul_i32 s61, s60, s61                                    // 000000007468: 923D3D3C
	s_add_u32 s82, s82, s61                                    // 00000000746C: 80523D52
	v_mul_lo_u32 v6, v5, s82                                   // 000000007470: D2850006 0000A505
	v_readlane_b32 s82, v3, 13                                 // 000000007478: D2890052 00011B03
	s_lshr_b32 s61, s82, 24                                    // 000000007480: 8F3D9852
	s_and_b32 s82, s82, 0xffffff                               // 000000007484: 8652FF52 00FFFFFF
	s_mul_i32 s82, s82, s71                                    // 00000000748C: 92524752
	s_mul_i32 s61, s60, s61                                    // 000000007490: 923D3D3C
	s_add_u32 s82, s82, s61                                    // 000000007494: 80523D52
	v_mul_lo_u32 v7, v4, s82                                   // 000000007498: D2850007 0000A504
	v_add_u32_e32 v54, v6, v7                                  // 0000000074A0: 686C0F06
	v_readlane_b32 s82, v3, 14                                 // 0000000074A4: D2890052 00011D03
	s_lshr_b32 s61, s82, 24                                    // 0000000074AC: 8F3D9852
	s_and_b32 s82, s82, 0xffffff                               // 0000000074B0: 8652FF52 00FFFFFF
	s_mul_i32 s82, s82, s71                                    // 0000000074B8: 92524752
	s_mul_i32 s61, s60, s61                                    // 0000000074BC: 923D3D3C
	s_add_u32 s82, s82, s61                                    // 0000000074C0: 80523D52
	v_mul_lo_u32 v6, v5, s82                                   // 0000000074C4: D2850006 0000A505
	v_readlane_b32 s82, v3, 15                                 // 0000000074CC: D2890052 00011F03
	s_lshr_b32 s61, s82, 24                                    // 0000000074D4: 8F3D9852
	s_and_b32 s82, s82, 0xffffff                               // 0000000074D8: 8652FF52 00FFFFFF
	s_mul_i32 s82, s82, s71                                    // 0000000074E0: 92524752
	s_mul_i32 s61, s60, s61                                    // 0000000074E4: 923D3D3C
	s_add_u32 s82, s82, s61                                    // 0000000074E8: 80523D52
	v_mul_lo_u32 v7, v4, s82                                   // 0000000074EC: D2850007 0000A504
	v_add_u32_e32 v55, v6, v7                                  // 0000000074F4: 686E0F06
	v_readlane_b32 s82, v3, 16                                 // 0000000074F8: D2890052 00012103
	s_lshr_b32 s61, s82, 24                                    // 000000007500: 8F3D9852
	s_and_b32 s82, s82, 0xffffff                               // 000000007504: 8652FF52 00FFFFFF
	s_mul_i32 s82, s82, s71                                    // 00000000750C: 92524752
	s_mul_i32 s61, s60, s61                                    // 000000007510: 923D3D3C
	s_add_u32 s82, s82, s61                                    // 000000007514: 80523D52
	v_mul_lo_u32 v6, v5, s82                                   // 000000007518: D2850006 0000A505
	v_readlane_b32 s82, v3, 17                                 // 000000007520: D2890052 00012303
	s_lshr_b32 s61, s82, 24                                    // 000000007528: 8F3D9852
	s_and_b32 s82, s82, 0xffffff                               // 00000000752C: 8652FF52 00FFFFFF
	s_mul_i32 s82, s82, s71                                    // 000000007534: 92524752
	s_mul_i32 s61, s60, s61                                    // 000000007538: 923D3D3C
	s_add_u32 s82, s82, s61                                    // 00000000753C: 80523D52
	v_mul_lo_u32 v7, v4, s82                                   // 000000007540: D2850007 0000A504
	v_add_u32_e32 v56, v6, v7                                  // 000000007548: 68700F06
	v_readlane_b32 s82, v3, 18                                 // 00000000754C: D2890052 00012503
	s_lshr_b32 s61, s82, 24                                    // 000000007554: 8F3D9852
	s_and_b32 s82, s82, 0xffffff                               // 000000007558: 8652FF52 00FFFFFF
	s_mul_i32 s82, s82, s71                                    // 000000007560: 92524752
	s_mul_i32 s61, s60, s61                                    // 000000007564: 923D3D3C
	s_add_u32 s82, s82, s61                                    // 000000007568: 80523D52
	v_mul_lo_u32 v6, v5, s82                                   // 00000000756C: D2850006 0000A505
	v_readlane_b32 s82, v3, 19                                 // 000000007574: D2890052 00012703
	s_lshr_b32 s61, s82, 24                                    // 00000000757C: 8F3D9852
	s_and_b32 s82, s82, 0xffffff                               // 000000007580: 8652FF52 00FFFFFF
	s_mul_i32 s82, s82, s71                                    // 000000007588: 92524752
	s_mul_i32 s61, s60, s61                                    // 00000000758C: 923D3D3C
	s_add_u32 s82, s82, s61                                    // 000000007590: 80523D52
	v_mul_lo_u32 v7, v4, s82                                   // 000000007594: D2850007 0000A504
	v_add_u32_e32 v57, v6, v7                                  // 00000000759C: 68720F06
	v_and_b32_e32 v4, 31, v0                                   // 0000000075A0: 2608009F
	v_lshrrev_b32_e32 v4, 1, v4                                // 0000000075A4: 20080881
	s_cmp_eq_u32 s88, 0                                        // 0000000075A8: BF068058
	s_cselect_b32 s61, 2, 4                                    // 0000000075AC: 853D8482
	v_mul_lo_u32 v4, v4, s61                                   // 0000000075B0: D2850004 00007B04
	v_and_b32_e64 v5, v0, 1                                    // 0000000075B8: D1130005 00010300
	v_add_u32_e32 v4, v4, v5                                   // 0000000075C0: 68080B04
	v_lshlrev_b32_e32 v4, 2, v4                                // 0000000075C4: 24080882
	v_add_u32_e32 v48, v48, v4                                 // 0000000075C8: 68600930
	v_add_u32_e32 v49, v49, v4                                 // 0000000075CC: 68620931
	v_add_u32_e32 v50, v50, v4                                 // 0000000075D0: 68640932
	v_add_u32_e32 v51, v51, v4                                 // 0000000075D4: 68660933
	v_add_u32_e32 v52, v52, v4                                 // 0000000075D8: 68680934
	v_add_u32_e32 v53, v53, v4                                 // 0000000075DC: 686A0935
	v_add_u32_e32 v54, v54, v4                                 // 0000000075E0: 686C0936
	v_add_u32_e32 v55, v55, v4                                 // 0000000075E4: 686E0937
	v_add_u32_e32 v56, v56, v4                                 // 0000000075E8: 68700938
	v_add_u32_e32 v57, v57, v4                                 // 0000000075EC: 68720939
	s_waitcnt lgkmcnt(0)                                       // 0000000075F0: BF8CC07F
	s_barrier                                                  // 0000000075F4: BF8A0000
	ds_read_b32 v60, v21                                       // 0000000075F8: D86C0000 3C000015
	ds_read_b32 v61, v21 offset:64                             // 000000007600: D86C0040 3D000015
	ds_read_b32 v64, v21 offset:2176                           // 000000007608: D86C0880 40000015
	ds_read_b32 v65, v21 offset:2240                           // 000000007610: D86C08C0 41000015
	ds_read_b32 v68, v21 offset:4352                           // 000000007618: D86C1100 44000015
	ds_read_b32 v69, v21 offset:4416                           // 000000007620: D86C1140 45000015
	ds_read_b32 v72, v21 offset:6528                           // 000000007628: D86C1980 48000015
	ds_read_b32 v73, v21 offset:6592                           // 000000007630: D86C19C0 49000015
	ds_read_b32 v76, v21 offset:8704                           // 000000007638: D86C2200 4C000015
	ds_read_b32 v77, v21 offset:8768                           // 000000007640: D86C2240 4D000015
	s_waitcnt lgkmcnt(0)                                       // 000000007648: BF8CC07F
	s_mov_b32 s36, -1                                          // 00000000764C: BEA400C1
	s_mov_b32 s37, -1                                          // 000000007650: BEA500C1
	v_mov_b32_e32 v7, 0                                        // 000000007654: 7E0E0280
	s_mov_b64 exec, s[36:37]                                   // 000000007658: BEFE0124
	v_mov_b32_e32 v6, v48                                      // 00000000765C: 7E0C0330
	s_mov_b64 s[60:61], 0                                      // 000000007660: BEBC0180
	v_readlane_b32 s82, v3, 0                                  // 000000007664: D2890052 00010103
	s_and_b32 s82, s82, 0xffffff                               // 00000000766C: 8652FF52 00FFFFFF
	s_cmp_lt_u32 s82, s66                                      // 000000007674: BF0A4252
	s_cselect_b32 s20, s36, s60                                // 000000007678: 85143C24
	v_readlane_b32 s82, v3, 1                                  // 00000000767C: D2890052 00010303
	s_and_b32 s82, s82, 0xffffff                               // 000000007684: 8652FF52 00FFFFFF
	s_cmp_lt_u32 s82, s66                                      // 00000000768C: BF0A4252
	s_cselect_b32 s21, s36, s60                                // 000000007690: 85153C24
	s_mov_b64 exec, s[20:21]                                   // 000000007694: BEFE0114
	global_atomic_add_f32 v6, v60, s[8:9]                      // 000000007698: DD348000 00083C06
	s_mov_b64 exec, s[36:37]                                   // 0000000076A0: BEFE0124
	v_mov_b32_e32 v6, v49                                      // 0000000076A4: 7E0C0331
	s_mov_b64 s[60:61], 0                                      // 0000000076A8: BEBC0180
	v_readlane_b32 s82, v3, 2                                  // 0000000076AC: D2890052 00010503
	s_and_b32 s82, s82, 0xffffff                               // 0000000076B4: 8652FF52 00FFFFFF
	s_cmp_lt_u32 s82, s66                                      // 0000000076BC: BF0A4252
	s_cselect_b32 s20, s36, s60                                // 0000000076C0: 85143C24
	v_readlane_b32 s82, v3, 3                                  // 0000000076C4: D2890052 00010703
	s_and_b32 s82, s82, 0xffffff                               // 0000000076CC: 8652FF52 00FFFFFF
	s_cmp_lt_u32 s82, s66                                      // 0000000076D4: BF0A4252
	s_cselect_b32 s21, s36, s60                                // 0000000076D8: 85153C24
	s_mov_b64 exec, s[20:21]                                   // 0000000076DC: BEFE0114
	global_atomic_add_f32 v6, v61, s[8:9]                      // 0000000076E0: DD348000 00083D06
	s_mov_b64 exec, s[36:37]                                   // 0000000076E8: BEFE0124
	v_mov_b32_e32 v6, v50                                      // 0000000076EC: 7E0C0332
	s_mov_b64 s[60:61], 0                                      // 0000000076F0: BEBC0180
	v_readlane_b32 s82, v3, 4                                  // 0000000076F4: D2890052 00010903
	s_and_b32 s82, s82, 0xffffff                               // 0000000076FC: 8652FF52 00FFFFFF
	s_cmp_lt_u32 s82, s66                                      // 000000007704: BF0A4252
	s_cselect_b32 s20, s36, s60                                // 000000007708: 85143C24
	v_readlane_b32 s82, v3, 5                                  // 00000000770C: D2890052 00010B03
	s_and_b32 s82, s82, 0xffffff                               // 000000007714: 8652FF52 00FFFFFF
	s_cmp_lt_u32 s82, s66                                      // 00000000771C: BF0A4252
	s_cselect_b32 s21, s36, s60                                // 000000007720: 85153C24
	s_mov_b64 exec, s[20:21]                                   // 000000007724: BEFE0114
	global_atomic_add_f32 v6, v64, s[8:9]                      // 000000007728: DD348000 00084006
	s_mov_b64 exec, s[36:37]                                   // 000000007730: BEFE0124
	v_mov_b32_e32 v6, v51                                      // 000000007734: 7E0C0333
	s_mov_b64 s[60:61], 0                                      // 000000007738: BEBC0180
	v_readlane_b32 s82, v3, 6                                  // 00000000773C: D2890052 00010D03
	s_and_b32 s82, s82, 0xffffff                               // 000000007744: 8652FF52 00FFFFFF
	s_cmp_lt_u32 s82, s66                                      // 00000000774C: BF0A4252
	s_cselect_b32 s20, s36, s60                                // 000000007750: 85143C24
	v_readlane_b32 s82, v3, 7                                  // 000000007754: D2890052 00010F03
	s_and_b32 s82, s82, 0xffffff                               // 00000000775C: 8652FF52 00FFFFFF
	s_cmp_lt_u32 s82, s66                                      // 000000007764: BF0A4252
	s_cselect_b32 s21, s36, s60                                // 000000007768: 85153C24
	s_mov_b64 exec, s[20:21]                                   // 00000000776C: BEFE0114
	global_atomic_add_f32 v6, v65, s[8:9]                      // 000000007770: DD348000 00084106
	s_mov_b64 exec, s[36:37]                                   // 000000007778: BEFE0124
	v_mov_b32_e32 v6, v52                                      // 00000000777C: 7E0C0334
	s_mov_b64 s[60:61], 0                                      // 000000007780: BEBC0180
	v_readlane_b32 s82, v3, 8                                  // 000000007784: D2890052 00011103
	s_and_b32 s82, s82, 0xffffff                               // 00000000778C: 8652FF52 00FFFFFF
	s_cmp_lt_u32 s82, s66                                      // 000000007794: BF0A4252
	s_cselect_b32 s20, s36, s60                                // 000000007798: 85143C24
	v_readlane_b32 s82, v3, 9                                  // 00000000779C: D2890052 00011303
	s_and_b32 s82, s82, 0xffffff                               // 0000000077A4: 8652FF52 00FFFFFF
	s_cmp_lt_u32 s82, s66                                      // 0000000077AC: BF0A4252
	s_cselect_b32 s21, s36, s60                                // 0000000077B0: 85153C24
	s_mov_b64 exec, s[20:21]                                   // 0000000077B4: BEFE0114
	global_atomic_add_f32 v6, v68, s[8:9]                      // 0000000077B8: DD348000 00084406
	s_mov_b64 exec, s[36:37]                                   // 0000000077C0: BEFE0124
	v_mov_b32_e32 v6, v53                                      // 0000000077C4: 7E0C0335
	s_mov_b64 s[60:61], 0                                      // 0000000077C8: BEBC0180
	v_readlane_b32 s82, v3, 10                                 // 0000000077CC: D2890052 00011503
	s_and_b32 s82, s82, 0xffffff                               // 0000000077D4: 8652FF52 00FFFFFF
	s_cmp_lt_u32 s82, s66                                      // 0000000077DC: BF0A4252
	s_cselect_b32 s20, s36, s60                                // 0000000077E0: 85143C24
	v_readlane_b32 s82, v3, 11                                 // 0000000077E4: D2890052 00011703
	s_and_b32 s82, s82, 0xffffff                               // 0000000077EC: 8652FF52 00FFFFFF
	s_cmp_lt_u32 s82, s66                                      // 0000000077F4: BF0A4252
	s_cselect_b32 s21, s36, s60                                // 0000000077F8: 85153C24
	s_mov_b64 exec, s[20:21]                                   // 0000000077FC: BEFE0114
	global_atomic_add_f32 v6, v69, s[8:9]                      // 000000007800: DD348000 00084506
	s_mov_b64 exec, s[36:37]                                   // 000000007808: BEFE0124
	v_mov_b32_e32 v6, v54                                      // 00000000780C: 7E0C0336
	s_mov_b64 s[60:61], 0                                      // 000000007810: BEBC0180
	v_readlane_b32 s82, v3, 12                                 // 000000007814: D2890052 00011903
	s_and_b32 s82, s82, 0xffffff                               // 00000000781C: 8652FF52 00FFFFFF
	s_cmp_lt_u32 s82, s66                                      // 000000007824: BF0A4252
	s_cselect_b32 s20, s36, s60                                // 000000007828: 85143C24
	v_readlane_b32 s82, v3, 13                                 // 00000000782C: D2890052 00011B03
	s_and_b32 s82, s82, 0xffffff                               // 000000007834: 8652FF52 00FFFFFF
	s_cmp_lt_u32 s82, s66                                      // 00000000783C: BF0A4252
	s_cselect_b32 s21, s36, s60                                // 000000007840: 85153C24
	s_mov_b64 exec, s[20:21]                                   // 000000007844: BEFE0114
	global_atomic_add_f32 v6, v72, s[8:9]                      // 000000007848: DD348000 00084806
	s_mov_b64 exec, s[36:37]                                   // 000000007850: BEFE0124
	v_mov_b32_e32 v6, v55                                      // 000000007854: 7E0C0337
	s_mov_b64 s[60:61], 0                                      // 000000007858: BEBC0180
	v_readlane_b32 s82, v3, 14                                 // 00000000785C: D2890052 00011D03
	s_and_b32 s82, s82, 0xffffff                               // 000000007864: 8652FF52 00FFFFFF
	s_cmp_lt_u32 s82, s66                                      // 00000000786C: BF0A4252
	s_cselect_b32 s20, s36, s60                                // 000000007870: 85143C24
	v_readlane_b32 s82, v3, 15                                 // 000000007874: D2890052 00011F03
	s_and_b32 s82, s82, 0xffffff                               // 00000000787C: 8652FF52 00FFFFFF
	s_cmp_lt_u32 s82, s66                                      // 000000007884: BF0A4252
	s_cselect_b32 s21, s36, s60                                // 000000007888: 85153C24
	s_mov_b64 exec, s[20:21]                                   // 00000000788C: BEFE0114
	global_atomic_add_f32 v6, v73, s[8:9]                      // 000000007890: DD348000 00084906
	s_mov_b64 exec, s[36:37]                                   // 000000007898: BEFE0124
	v_mov_b32_e32 v6, v56                                      // 00000000789C: 7E0C0338
	s_mov_b64 s[60:61], 0                                      // 0000000078A0: BEBC0180
	v_readlane_b32 s82, v3, 16                                 // 0000000078A4: D2890052 00012103
	s_and_b32 s82, s82, 0xffffff                               // 0000000078AC: 8652FF52 00FFFFFF
	s_cmp_lt_u32 s82, s66                                      // 0000000078B4: BF0A4252
	s_cselect_b32 s20, s36, s60                                // 0000000078B8: 85143C24
	v_readlane_b32 s82, v3, 17                                 // 0000000078BC: D2890052 00012303
	s_and_b32 s82, s82, 0xffffff                               // 0000000078C4: 8652FF52 00FFFFFF
	s_cmp_lt_u32 s82, s66                                      // 0000000078CC: BF0A4252
	s_cselect_b32 s21, s36, s60                                // 0000000078D0: 85153C24
	s_mov_b64 exec, s[20:21]                                   // 0000000078D4: BEFE0114
	global_atomic_add_f32 v6, v76, s[8:9]                      // 0000000078D8: DD348000 00084C06
	s_mov_b64 exec, s[36:37]                                   // 0000000078E0: BEFE0124
	v_mov_b32_e32 v6, v57                                      // 0000000078E4: 7E0C0339
	s_mov_b64 s[60:61], 0                                      // 0000000078E8: BEBC0180
	v_readlane_b32 s82, v3, 18                                 // 0000000078EC: D2890052 00012503
	s_and_b32 s82, s82, 0xffffff                               // 0000000078F4: 8652FF52 00FFFFFF
	s_cmp_lt_u32 s82, s66                                      // 0000000078FC: BF0A4252
	s_cselect_b32 s20, s36, s60                                // 000000007900: 85143C24
	v_readlane_b32 s82, v3, 19                                 // 000000007904: D2890052 00012703
	s_and_b32 s82, s82, 0xffffff                               // 00000000790C: 8652FF52 00FFFFFF
	s_cmp_lt_u32 s82, s66                                      // 000000007914: BF0A4252
	s_cselect_b32 s21, s36, s60                                // 000000007918: 85153C24
	s_mov_b64 exec, s[20:21]                                   // 00000000791C: BEFE0114
	global_atomic_add_f32 v6, v77, s[8:9]                      // 000000007920: DD348000 00084D06
	s_mov_b64 exec, s[36:37]                                   // 000000007928: BEFE0124
	ds_write_b64 v20, v[62:63]                                 // 00000000792C: D89A0000 00003E14
	ds_write_b64 v20, v[66:67] offset:2176                     // 000000007934: D89A0880 00004214
	ds_write_b64 v20, v[70:71] offset:4352                     // 00000000793C: D89A1100 00004614
	ds_write_b64 v20, v[74:75] offset:6528                     // 000000007944: D89A1980 00004A14
	ds_write_b64 v20, v[78:79] offset:8704                     // 00000000794C: D89A2200 00004E14
	s_waitcnt lgkmcnt(0)                                       // 000000007954: BF8CC07F
	s_barrier                                                  // 000000007958: BF8A0000
	ds_read_b32 v62, v21                                       // 00000000795C: D86C0000 3E000015
	ds_read_b32 v63, v21 offset:64                             // 000000007964: D86C0040 3F000015
	ds_read_b32 v66, v21 offset:2176                           // 00000000796C: D86C0880 42000015
	ds_read_b32 v67, v21 offset:2240                           // 000000007974: D86C08C0 43000015
	ds_read_b32 v70, v21 offset:4352                           // 00000000797C: D86C1100 46000015
	ds_read_b32 v71, v21 offset:4416                           // 000000007984: D86C1140 47000015
	ds_read_b32 v74, v21 offset:6528                           // 00000000798C: D86C1980 4A000015
	ds_read_b32 v75, v21 offset:6592                           // 000000007994: D86C19C0 4B000015
	ds_read_b32 v78, v21 offset:8704                           // 00000000799C: D86C2200 4E000015
	ds_read_b32 v79, v21 offset:8768                           // 0000000079A4: D86C2240 4F000015
	s_waitcnt lgkmcnt(0)                                       // 0000000079AC: BF8CC07F
	v_mov_b32_e32 v7, 0                                        // 0000000079B0: 7E0E0280
	s_mov_b64 exec, s[36:37]                                   // 0000000079B4: BEFE0124
	v_mov_b32_e32 v6, v48                                      // 0000000079B8: 7E0C0330
	s_mov_b64 s[60:61], 0                                      // 0000000079BC: BEBC0180
	v_readlane_b32 s82, v3, 0                                  // 0000000079C0: D2890052 00010103
	s_and_b32 s82, s82, 0xffffff                               // 0000000079C8: 8652FF52 00FFFFFF
	s_cmp_lt_u32 s82, s66                                      // 0000000079D0: BF0A4252
	s_cselect_b32 s20, s36, s60                                // 0000000079D4: 85143C24
	v_readlane_b32 s82, v3, 1                                  // 0000000079D8: D2890052 00010303
	s_and_b32 s82, s82, 0xffffff                               // 0000000079E0: 8652FF52 00FFFFFF
	s_cmp_lt_u32 s82, s66                                      // 0000000079E8: BF0A4252
	s_cselect_b32 s21, s36, s60                                // 0000000079EC: 85153C24
	s_mov_b64 exec, s[20:21]                                   // 0000000079F0: BEFE0114
	global_atomic_add_f32 v6, v62, s[8:9] offset:8             // 0000000079F4: DD348008 00083E06
	s_mov_b64 exec, s[36:37]                                   // 0000000079FC: BEFE0124
	v_mov_b32_e32 v6, v49                                      // 000000007A00: 7E0C0331
	s_mov_b64 s[60:61], 0                                      // 000000007A04: BEBC0180
	v_readlane_b32 s82, v3, 2                                  // 000000007A08: D2890052 00010503
	s_and_b32 s82, s82, 0xffffff                               // 000000007A10: 8652FF52 00FFFFFF
	s_cmp_lt_u32 s82, s66                                      // 000000007A18: BF0A4252
	s_cselect_b32 s20, s36, s60                                // 000000007A1C: 85143C24
	v_readlane_b32 s82, v3, 3                                  // 000000007A20: D2890052 00010703
	s_and_b32 s82, s82, 0xffffff                               // 000000007A28: 8652FF52 00FFFFFF
	s_cmp_lt_u32 s82, s66                                      // 000000007A30: BF0A4252
	s_cselect_b32 s21, s36, s60                                // 000000007A34: 85153C24
	s_mov_b64 exec, s[20:21]                                   // 000000007A38: BEFE0114
	global_atomic_add_f32 v6, v63, s[8:9] offset:8             // 000000007A3C: DD348008 00083F06
	s_mov_b64 exec, s[36:37]                                   // 000000007A44: BEFE0124
	v_mov_b32_e32 v6, v50                                      // 000000007A48: 7E0C0332
	s_mov_b64 s[60:61], 0                                      // 000000007A4C: BEBC0180
	v_readlane_b32 s82, v3, 4                                  // 000000007A50: D2890052 00010903
	s_and_b32 s82, s82, 0xffffff                               // 000000007A58: 8652FF52 00FFFFFF
	s_cmp_lt_u32 s82, s66                                      // 000000007A60: BF0A4252
	s_cselect_b32 s20, s36, s60                                // 000000007A64: 85143C24
	v_readlane_b32 s82, v3, 5                                  // 000000007A68: D2890052 00010B03
	s_and_b32 s82, s82, 0xffffff                               // 000000007A70: 8652FF52 00FFFFFF
	s_cmp_lt_u32 s82, s66                                      // 000000007A78: BF0A4252
	s_cselect_b32 s21, s36, s60                                // 000000007A7C: 85153C24
	s_mov_b64 exec, s[20:21]                                   // 000000007A80: BEFE0114
	global_atomic_add_f32 v6, v66, s[8:9] offset:8             // 000000007A84: DD348008 00084206
	s_mov_b64 exec, s[36:37]                                   // 000000007A8C: BEFE0124
	v_mov_b32_e32 v6, v51                                      // 000000007A90: 7E0C0333
	s_mov_b64 s[60:61], 0                                      // 000000007A94: BEBC0180
	v_readlane_b32 s82, v3, 6                                  // 000000007A98: D2890052 00010D03
	s_and_b32 s82, s82, 0xffffff                               // 000000007AA0: 8652FF52 00FFFFFF
	s_cmp_lt_u32 s82, s66                                      // 000000007AA8: BF0A4252
	s_cselect_b32 s20, s36, s60                                // 000000007AAC: 85143C24
	v_readlane_b32 s82, v3, 7                                  // 000000007AB0: D2890052 00010F03
	s_and_b32 s82, s82, 0xffffff                               // 000000007AB8: 8652FF52 00FFFFFF
	s_cmp_lt_u32 s82, s66                                      // 000000007AC0: BF0A4252
	s_cselect_b32 s21, s36, s60                                // 000000007AC4: 85153C24
	s_mov_b64 exec, s[20:21]                                   // 000000007AC8: BEFE0114
	global_atomic_add_f32 v6, v67, s[8:9] offset:8             // 000000007ACC: DD348008 00084306
	s_mov_b64 exec, s[36:37]                                   // 000000007AD4: BEFE0124
	v_mov_b32_e32 v6, v52                                      // 000000007AD8: 7E0C0334
	s_mov_b64 s[60:61], 0                                      // 000000007ADC: BEBC0180
	v_readlane_b32 s82, v3, 8                                  // 000000007AE0: D2890052 00011103
	s_and_b32 s82, s82, 0xffffff                               // 000000007AE8: 8652FF52 00FFFFFF
	s_cmp_lt_u32 s82, s66                                      // 000000007AF0: BF0A4252
	s_cselect_b32 s20, s36, s60                                // 000000007AF4: 85143C24
	v_readlane_b32 s82, v3, 9                                  // 000000007AF8: D2890052 00011303
	s_and_b32 s82, s82, 0xffffff                               // 000000007B00: 8652FF52 00FFFFFF
	s_cmp_lt_u32 s82, s66                                      // 000000007B08: BF0A4252
	s_cselect_b32 s21, s36, s60                                // 000000007B0C: 85153C24
	s_mov_b64 exec, s[20:21]                                   // 000000007B10: BEFE0114
	global_atomic_add_f32 v6, v70, s[8:9] offset:8             // 000000007B14: DD348008 00084606
	s_mov_b64 exec, s[36:37]                                   // 000000007B1C: BEFE0124
	v_mov_b32_e32 v6, v53                                      // 000000007B20: 7E0C0335
	s_mov_b64 s[60:61], 0                                      // 000000007B24: BEBC0180
	v_readlane_b32 s82, v3, 10                                 // 000000007B28: D2890052 00011503
	s_and_b32 s82, s82, 0xffffff                               // 000000007B30: 8652FF52 00FFFFFF
	s_cmp_lt_u32 s82, s66                                      // 000000007B38: BF0A4252
	s_cselect_b32 s20, s36, s60                                // 000000007B3C: 85143C24
	v_readlane_b32 s82, v3, 11                                 // 000000007B40: D2890052 00011703
	s_and_b32 s82, s82, 0xffffff                               // 000000007B48: 8652FF52 00FFFFFF
	s_cmp_lt_u32 s82, s66                                      // 000000007B50: BF0A4252
	s_cselect_b32 s21, s36, s60                                // 000000007B54: 85153C24
	s_mov_b64 exec, s[20:21]                                   // 000000007B58: BEFE0114
	global_atomic_add_f32 v6, v71, s[8:9] offset:8             // 000000007B5C: DD348008 00084706
	s_mov_b64 exec, s[36:37]                                   // 000000007B64: BEFE0124
	v_mov_b32_e32 v6, v54                                      // 000000007B68: 7E0C0336
	s_mov_b64 s[60:61], 0                                      // 000000007B6C: BEBC0180
	v_readlane_b32 s82, v3, 12                                 // 000000007B70: D2890052 00011903
	s_and_b32 s82, s82, 0xffffff                               // 000000007B78: 8652FF52 00FFFFFF
	s_cmp_lt_u32 s82, s66                                      // 000000007B80: BF0A4252
	s_cselect_b32 s20, s36, s60                                // 000000007B84: 85143C24
	v_readlane_b32 s82, v3, 13                                 // 000000007B88: D2890052 00011B03
	s_and_b32 s82, s82, 0xffffff                               // 000000007B90: 8652FF52 00FFFFFF
	s_cmp_lt_u32 s82, s66                                      // 000000007B98: BF0A4252
	s_cselect_b32 s21, s36, s60                                // 000000007B9C: 85153C24
	s_mov_b64 exec, s[20:21]                                   // 000000007BA0: BEFE0114
	global_atomic_add_f32 v6, v74, s[8:9] offset:8             // 000000007BA4: DD348008 00084A06
	s_mov_b64 exec, s[36:37]                                   // 000000007BAC: BEFE0124
	v_mov_b32_e32 v6, v55                                      // 000000007BB0: 7E0C0337
	s_mov_b64 s[60:61], 0                                      // 000000007BB4: BEBC0180
	v_readlane_b32 s82, v3, 14                                 // 000000007BB8: D2890052 00011D03
	s_and_b32 s82, s82, 0xffffff                               // 000000007BC0: 8652FF52 00FFFFFF
	s_cmp_lt_u32 s82, s66                                      // 000000007BC8: BF0A4252
	s_cselect_b32 s20, s36, s60                                // 000000007BCC: 85143C24
	v_readlane_b32 s82, v3, 15                                 // 000000007BD0: D2890052 00011F03
	s_and_b32 s82, s82, 0xffffff                               // 000000007BD8: 8652FF52 00FFFFFF
	s_cmp_lt_u32 s82, s66                                      // 000000007BE0: BF0A4252
	s_cselect_b32 s21, s36, s60                                // 000000007BE4: 85153C24
	s_mov_b64 exec, s[20:21]                                   // 000000007BE8: BEFE0114
	global_atomic_add_f32 v6, v75, s[8:9] offset:8             // 000000007BEC: DD348008 00084B06
	s_mov_b64 exec, s[36:37]                                   // 000000007BF4: BEFE0124
	v_mov_b32_e32 v6, v56                                      // 000000007BF8: 7E0C0338
	s_mov_b64 s[60:61], 0                                      // 000000007BFC: BEBC0180
	v_readlane_b32 s82, v3, 16                                 // 000000007C00: D2890052 00012103
	s_and_b32 s82, s82, 0xffffff                               // 000000007C08: 8652FF52 00FFFFFF
	s_cmp_lt_u32 s82, s66                                      // 000000007C10: BF0A4252
	s_cselect_b32 s20, s36, s60                                // 000000007C14: 85143C24
	v_readlane_b32 s82, v3, 17                                 // 000000007C18: D2890052 00012303
	s_and_b32 s82, s82, 0xffffff                               // 000000007C20: 8652FF52 00FFFFFF
	s_cmp_lt_u32 s82, s66                                      // 000000007C28: BF0A4252
	s_cselect_b32 s21, s36, s60                                // 000000007C2C: 85153C24
	s_mov_b64 exec, s[20:21]                                   // 000000007C30: BEFE0114
	global_atomic_add_f32 v6, v78, s[8:9] offset:8             // 000000007C34: DD348008 00084E06
	s_mov_b64 exec, s[36:37]                                   // 000000007C3C: BEFE0124
	v_mov_b32_e32 v6, v57                                      // 000000007C40: 7E0C0339
	s_mov_b64 s[60:61], 0                                      // 000000007C44: BEBC0180
	v_readlane_b32 s82, v3, 18                                 // 000000007C48: D2890052 00012503
	s_and_b32 s82, s82, 0xffffff                               // 000000007C50: 8652FF52 00FFFFFF
	s_cmp_lt_u32 s82, s66                                      // 000000007C58: BF0A4252
	s_cselect_b32 s20, s36, s60                                // 000000007C5C: 85143C24
	v_readlane_b32 s82, v3, 19                                 // 000000007C60: D2890052 00012703
	s_and_b32 s82, s82, 0xffffff                               // 000000007C68: 8652FF52 00FFFFFF
	s_cmp_lt_u32 s82, s66                                      // 000000007C70: BF0A4252
	s_cselect_b32 s21, s36, s60                                // 000000007C74: 85153C24
	s_mov_b64 exec, s[20:21]                                   // 000000007C78: BEFE0114
	global_atomic_add_f32 v6, v79, s[8:9] offset:8             // 000000007C7C: DD348008 00084F06
	s_mov_b64 exec, s[36:37]                                   // 000000007C84: BEFE0124
	ds_write_b64 v20, v[80:81]                                 // 000000007C88: D89A0000 00005014
	ds_write_b64 v20, v[84:85] offset:2176                     // 000000007C90: D89A0880 00005414
	ds_write_b64 v20, v[88:89] offset:4352                     // 000000007C98: D89A1100 00005814
	ds_write_b64 v20, v[92:93] offset:6528                     // 000000007CA0: D89A1980 00005C14
	ds_write_b64 v20, v[96:97] offset:8704                     // 000000007CA8: D89A2200 00006014
	s_waitcnt lgkmcnt(0)                                       // 000000007CB0: BF8CC07F
	s_barrier                                                  // 000000007CB4: BF8A0000
	ds_read_b32 v80, v21                                       // 000000007CB8: D86C0000 50000015
	ds_read_b32 v81, v21 offset:64                             // 000000007CC0: D86C0040 51000015
	ds_read_b32 v84, v21 offset:2176                           // 000000007CC8: D86C0880 54000015
	ds_read_b32 v85, v21 offset:2240                           // 000000007CD0: D86C08C0 55000015
	ds_read_b32 v88, v21 offset:4352                           // 000000007CD8: D86C1100 58000015
	ds_read_b32 v89, v21 offset:4416                           // 000000007CE0: D86C1140 59000015
	ds_read_b32 v92, v21 offset:6528                           // 000000007CE8: D86C1980 5C000015
	ds_read_b32 v93, v21 offset:6592                           // 000000007CF0: D86C19C0 5D000015
	ds_read_b32 v96, v21 offset:8704                           // 000000007CF8: D86C2200 60000015
	ds_read_b32 v97, v21 offset:8768                           // 000000007D00: D86C2240 61000015
	s_mul_i32 s60, s65, 4                                      // 000000007D08: 923C8441
	s_add_u32 s8, s60, s8                                      // 000000007D0C: 8008083C
	s_addc_u32 s9, 0, s9                                       // 000000007D10: 82090980
	s_waitcnt lgkmcnt(0)                                       // 000000007D14: BF8CC07F
	v_mov_b32_e32 v7, 0                                        // 000000007D18: 7E0E0280
	s_mov_b64 exec, s[36:37]                                   // 000000007D1C: BEFE0124
	v_mov_b32_e32 v6, v48                                      // 000000007D20: 7E0C0330
	s_mov_b64 s[60:61], 0                                      // 000000007D24: BEBC0180
	v_readlane_b32 s82, v3, 0                                  // 000000007D28: D2890052 00010103
	s_and_b32 s82, s82, 0xffffff                               // 000000007D30: 8652FF52 00FFFFFF
	s_cmp_lt_u32 s82, s66                                      // 000000007D38: BF0A4252
	s_cselect_b32 s20, s36, s60                                // 000000007D3C: 85143C24
	v_readlane_b32 s82, v3, 1                                  // 000000007D40: D2890052 00010303
	s_and_b32 s82, s82, 0xffffff                               // 000000007D48: 8652FF52 00FFFFFF
	s_cmp_lt_u32 s82, s66                                      // 000000007D50: BF0A4252
	s_cselect_b32 s21, s36, s60                                // 000000007D54: 85153C24
	s_mov_b64 exec, s[20:21]                                   // 000000007D58: BEFE0114
	global_atomic_add_f32 v6, v80, s[8:9]                      // 000000007D5C: DD348000 00085006
	s_mov_b64 exec, s[36:37]                                   // 000000007D64: BEFE0124
	v_mov_b32_e32 v6, v49                                      // 000000007D68: 7E0C0331
	s_mov_b64 s[60:61], 0                                      // 000000007D6C: BEBC0180
	v_readlane_b32 s82, v3, 2                                  // 000000007D70: D2890052 00010503
	s_and_b32 s82, s82, 0xffffff                               // 000000007D78: 8652FF52 00FFFFFF
	s_cmp_lt_u32 s82, s66                                      // 000000007D80: BF0A4252
	s_cselect_b32 s20, s36, s60                                // 000000007D84: 85143C24
	v_readlane_b32 s82, v3, 3                                  // 000000007D88: D2890052 00010703
	s_and_b32 s82, s82, 0xffffff                               // 000000007D90: 8652FF52 00FFFFFF
	s_cmp_lt_u32 s82, s66                                      // 000000007D98: BF0A4252
	s_cselect_b32 s21, s36, s60                                // 000000007D9C: 85153C24
	s_mov_b64 exec, s[20:21]                                   // 000000007DA0: BEFE0114
	global_atomic_add_f32 v6, v81, s[8:9]                      // 000000007DA4: DD348000 00085106
	s_mov_b64 exec, s[36:37]                                   // 000000007DAC: BEFE0124
	v_mov_b32_e32 v6, v50                                      // 000000007DB0: 7E0C0332
	s_mov_b64 s[60:61], 0                                      // 000000007DB4: BEBC0180
	v_readlane_b32 s82, v3, 4                                  // 000000007DB8: D2890052 00010903
	s_and_b32 s82, s82, 0xffffff                               // 000000007DC0: 8652FF52 00FFFFFF
	s_cmp_lt_u32 s82, s66                                      // 000000007DC8: BF0A4252
	s_cselect_b32 s20, s36, s60                                // 000000007DCC: 85143C24
	v_readlane_b32 s82, v3, 5                                  // 000000007DD0: D2890052 00010B03
	s_and_b32 s82, s82, 0xffffff                               // 000000007DD8: 8652FF52 00FFFFFF
	s_cmp_lt_u32 s82, s66                                      // 000000007DE0: BF0A4252
	s_cselect_b32 s21, s36, s60                                // 000000007DE4: 85153C24
	s_mov_b64 exec, s[20:21]                                   // 000000007DE8: BEFE0114
	global_atomic_add_f32 v6, v84, s[8:9]                      // 000000007DEC: DD348000 00085406
	s_mov_b64 exec, s[36:37]                                   // 000000007DF4: BEFE0124
	v_mov_b32_e32 v6, v51                                      // 000000007DF8: 7E0C0333
	s_mov_b64 s[60:61], 0                                      // 000000007DFC: BEBC0180
	v_readlane_b32 s82, v3, 6                                  // 000000007E00: D2890052 00010D03
	s_and_b32 s82, s82, 0xffffff                               // 000000007E08: 8652FF52 00FFFFFF
	s_cmp_lt_u32 s82, s66                                      // 000000007E10: BF0A4252
	s_cselect_b32 s20, s36, s60                                // 000000007E14: 85143C24
	v_readlane_b32 s82, v3, 7                                  // 000000007E18: D2890052 00010F03
	s_and_b32 s82, s82, 0xffffff                               // 000000007E20: 8652FF52 00FFFFFF
	s_cmp_lt_u32 s82, s66                                      // 000000007E28: BF0A4252
	s_cselect_b32 s21, s36, s60                                // 000000007E2C: 85153C24
	s_mov_b64 exec, s[20:21]                                   // 000000007E30: BEFE0114
	global_atomic_add_f32 v6, v85, s[8:9]                      // 000000007E34: DD348000 00085506
	s_mov_b64 exec, s[36:37]                                   // 000000007E3C: BEFE0124
	v_mov_b32_e32 v6, v52                                      // 000000007E40: 7E0C0334
	s_mov_b64 s[60:61], 0                                      // 000000007E44: BEBC0180
	v_readlane_b32 s82, v3, 8                                  // 000000007E48: D2890052 00011103
	s_and_b32 s82, s82, 0xffffff                               // 000000007E50: 8652FF52 00FFFFFF
	s_cmp_lt_u32 s82, s66                                      // 000000007E58: BF0A4252
	s_cselect_b32 s20, s36, s60                                // 000000007E5C: 85143C24
	v_readlane_b32 s82, v3, 9                                  // 000000007E60: D2890052 00011303
	s_and_b32 s82, s82, 0xffffff                               // 000000007E68: 8652FF52 00FFFFFF
	s_cmp_lt_u32 s82, s66                                      // 000000007E70: BF0A4252
	s_cselect_b32 s21, s36, s60                                // 000000007E74: 85153C24
	s_mov_b64 exec, s[20:21]                                   // 000000007E78: BEFE0114
	global_atomic_add_f32 v6, v88, s[8:9]                      // 000000007E7C: DD348000 00085806
	s_mov_b64 exec, s[36:37]                                   // 000000007E84: BEFE0124
	v_mov_b32_e32 v6, v53                                      // 000000007E88: 7E0C0335
	s_mov_b64 s[60:61], 0                                      // 000000007E8C: BEBC0180
	v_readlane_b32 s82, v3, 10                                 // 000000007E90: D2890052 00011503
	s_and_b32 s82, s82, 0xffffff                               // 000000007E98: 8652FF52 00FFFFFF
	s_cmp_lt_u32 s82, s66                                      // 000000007EA0: BF0A4252
	s_cselect_b32 s20, s36, s60                                // 000000007EA4: 85143C24
	v_readlane_b32 s82, v3, 11                                 // 000000007EA8: D2890052 00011703
	s_and_b32 s82, s82, 0xffffff                               // 000000007EB0: 8652FF52 00FFFFFF
	s_cmp_lt_u32 s82, s66                                      // 000000007EB8: BF0A4252
	s_cselect_b32 s21, s36, s60                                // 000000007EBC: 85153C24
	s_mov_b64 exec, s[20:21]                                   // 000000007EC0: BEFE0114
	global_atomic_add_f32 v6, v89, s[8:9]                      // 000000007EC4: DD348000 00085906
	s_mov_b64 exec, s[36:37]                                   // 000000007ECC: BEFE0124
	v_mov_b32_e32 v6, v54                                      // 000000007ED0: 7E0C0336
	s_mov_b64 s[60:61], 0                                      // 000000007ED4: BEBC0180
	v_readlane_b32 s82, v3, 12                                 // 000000007ED8: D2890052 00011903
	s_and_b32 s82, s82, 0xffffff                               // 000000007EE0: 8652FF52 00FFFFFF
	s_cmp_lt_u32 s82, s66                                      // 000000007EE8: BF0A4252
	s_cselect_b32 s20, s36, s60                                // 000000007EEC: 85143C24
	v_readlane_b32 s82, v3, 13                                 // 000000007EF0: D2890052 00011B03
	s_and_b32 s82, s82, 0xffffff                               // 000000007EF8: 8652FF52 00FFFFFF
	s_cmp_lt_u32 s82, s66                                      // 000000007F00: BF0A4252
	s_cselect_b32 s21, s36, s60                                // 000000007F04: 85153C24
	s_mov_b64 exec, s[20:21]                                   // 000000007F08: BEFE0114
	global_atomic_add_f32 v6, v92, s[8:9]                      // 000000007F0C: DD348000 00085C06
	s_mov_b64 exec, s[36:37]                                   // 000000007F14: BEFE0124
	v_mov_b32_e32 v6, v55                                      // 000000007F18: 7E0C0337
	s_mov_b64 s[60:61], 0                                      // 000000007F1C: BEBC0180
	v_readlane_b32 s82, v3, 14                                 // 000000007F20: D2890052 00011D03
	s_and_b32 s82, s82, 0xffffff                               // 000000007F28: 8652FF52 00FFFFFF
	s_cmp_lt_u32 s82, s66                                      // 000000007F30: BF0A4252
	s_cselect_b32 s20, s36, s60                                // 000000007F34: 85143C24
	v_readlane_b32 s82, v3, 15                                 // 000000007F38: D2890052 00011F03
	s_and_b32 s82, s82, 0xffffff                               // 000000007F40: 8652FF52 00FFFFFF
	s_cmp_lt_u32 s82, s66                                      // 000000007F48: BF0A4252
	s_cselect_b32 s21, s36, s60                                // 000000007F4C: 85153C24
	s_mov_b64 exec, s[20:21]                                   // 000000007F50: BEFE0114
	global_atomic_add_f32 v6, v93, s[8:9]                      // 000000007F54: DD348000 00085D06
	s_mov_b64 exec, s[36:37]                                   // 000000007F5C: BEFE0124
	v_mov_b32_e32 v6, v56                                      // 000000007F60: 7E0C0338
	s_mov_b64 s[60:61], 0                                      // 000000007F64: BEBC0180
	v_readlane_b32 s82, v3, 16                                 // 000000007F68: D2890052 00012103
	s_and_b32 s82, s82, 0xffffff                               // 000000007F70: 8652FF52 00FFFFFF
	s_cmp_lt_u32 s82, s66                                      // 000000007F78: BF0A4252
	s_cselect_b32 s20, s36, s60                                // 000000007F7C: 85143C24
	v_readlane_b32 s82, v3, 17                                 // 000000007F80: D2890052 00012303
	s_and_b32 s82, s82, 0xffffff                               // 000000007F88: 8652FF52 00FFFFFF
	s_cmp_lt_u32 s82, s66                                      // 000000007F90: BF0A4252
	s_cselect_b32 s21, s36, s60                                // 000000007F94: 85153C24
	s_mov_b64 exec, s[20:21]                                   // 000000007F98: BEFE0114
	global_atomic_add_f32 v6, v96, s[8:9]                      // 000000007F9C: DD348000 00086006
	s_mov_b64 exec, s[36:37]                                   // 000000007FA4: BEFE0124
	v_mov_b32_e32 v6, v57                                      // 000000007FA8: 7E0C0339
	s_mov_b64 s[60:61], 0                                      // 000000007FAC: BEBC0180
	v_readlane_b32 s82, v3, 18                                 // 000000007FB0: D2890052 00012503
	s_and_b32 s82, s82, 0xffffff                               // 000000007FB8: 8652FF52 00FFFFFF
	s_cmp_lt_u32 s82, s66                                      // 000000007FC0: BF0A4252
	s_cselect_b32 s20, s36, s60                                // 000000007FC4: 85143C24
	v_readlane_b32 s82, v3, 19                                 // 000000007FC8: D2890052 00012703
	s_and_b32 s82, s82, 0xffffff                               // 000000007FD0: 8652FF52 00FFFFFF
	s_cmp_lt_u32 s82, s66                                      // 000000007FD8: BF0A4252
	s_cselect_b32 s21, s36, s60                                // 000000007FDC: 85153C24
	s_mov_b64 exec, s[20:21]                                   // 000000007FE0: BEFE0114
	global_atomic_add_f32 v6, v97, s[8:9]                      // 000000007FE4: DD348000 00086106
	s_mov_b64 exec, s[36:37]                                   // 000000007FEC: BEFE0124
	ds_write_b64 v20, v[82:83]                                 // 000000007FF0: D89A0000 00005214
	ds_write_b64 v20, v[86:87] offset:2176                     // 000000007FF8: D89A0880 00005614
	ds_write_b64 v20, v[90:91] offset:4352                     // 000000008000: D89A1100 00005A14
	ds_write_b64 v20, v[94:95] offset:6528                     // 000000008008: D89A1980 00005E14
	ds_write_b64 v20, v[98:99] offset:8704                     // 000000008010: D89A2200 00006214
	s_waitcnt lgkmcnt(0)                                       // 000000008018: BF8CC07F
	s_barrier                                                  // 00000000801C: BF8A0000
	ds_read_b32 v82, v21                                       // 000000008020: D86C0000 52000015
	ds_read_b32 v83, v21 offset:64                             // 000000008028: D86C0040 53000015
	ds_read_b32 v86, v21 offset:2176                           // 000000008030: D86C0880 56000015
	ds_read_b32 v87, v21 offset:2240                           // 000000008038: D86C08C0 57000015
	ds_read_b32 v90, v21 offset:4352                           // 000000008040: D86C1100 5A000015
	ds_read_b32 v91, v21 offset:4416                           // 000000008048: D86C1140 5B000015
	ds_read_b32 v94, v21 offset:6528                           // 000000008050: D86C1980 5E000015
	ds_read_b32 v95, v21 offset:6592                           // 000000008058: D86C19C0 5F000015
	ds_read_b32 v98, v21 offset:8704                           // 000000008060: D86C2200 62000015
	ds_read_b32 v99, v21 offset:8768                           // 000000008068: D86C2240 63000015
	s_waitcnt lgkmcnt(0)                                       // 000000008070: BF8CC07F
	v_mov_b32_e32 v7, 0                                        // 000000008074: 7E0E0280
	s_mov_b64 exec, s[36:37]                                   // 000000008078: BEFE0124
	v_mov_b32_e32 v6, v48                                      // 00000000807C: 7E0C0330
	s_mov_b64 s[60:61], 0                                      // 000000008080: BEBC0180
	v_readlane_b32 s82, v3, 0                                  // 000000008084: D2890052 00010103
	s_and_b32 s82, s82, 0xffffff                               // 00000000808C: 8652FF52 00FFFFFF
	s_cmp_lt_u32 s82, s66                                      // 000000008094: BF0A4252
	s_cselect_b32 s20, s36, s60                                // 000000008098: 85143C24
	v_readlane_b32 s82, v3, 1                                  // 00000000809C: D2890052 00010303
	s_and_b32 s82, s82, 0xffffff                               // 0000000080A4: 8652FF52 00FFFFFF
	s_cmp_lt_u32 s82, s66                                      // 0000000080AC: BF0A4252
	s_cselect_b32 s21, s36, s60                                // 0000000080B0: 85153C24
	s_mov_b64 exec, s[20:21]                                   // 0000000080B4: BEFE0114
	global_atomic_add_f32 v6, v82, s[8:9] offset:8             // 0000000080B8: DD348008 00085206
	s_mov_b64 exec, s[36:37]                                   // 0000000080C0: BEFE0124
	v_mov_b32_e32 v6, v49                                      // 0000000080C4: 7E0C0331
	s_mov_b64 s[60:61], 0                                      // 0000000080C8: BEBC0180
	v_readlane_b32 s82, v3, 2                                  // 0000000080CC: D2890052 00010503
	s_and_b32 s82, s82, 0xffffff                               // 0000000080D4: 8652FF52 00FFFFFF
	s_cmp_lt_u32 s82, s66                                      // 0000000080DC: BF0A4252
	s_cselect_b32 s20, s36, s60                                // 0000000080E0: 85143C24
	v_readlane_b32 s82, v3, 3                                  // 0000000080E4: D2890052 00010703
	s_and_b32 s82, s82, 0xffffff                               // 0000000080EC: 8652FF52 00FFFFFF
	s_cmp_lt_u32 s82, s66                                      // 0000000080F4: BF0A4252
	s_cselect_b32 s21, s36, s60                                // 0000000080F8: 85153C24
	s_mov_b64 exec, s[20:21]                                   // 0000000080FC: BEFE0114
	global_atomic_add_f32 v6, v83, s[8:9] offset:8             // 000000008100: DD348008 00085306
	s_mov_b64 exec, s[36:37]                                   // 000000008108: BEFE0124
	v_mov_b32_e32 v6, v50                                      // 00000000810C: 7E0C0332
	s_mov_b64 s[60:61], 0                                      // 000000008110: BEBC0180
	v_readlane_b32 s82, v3, 4                                  // 000000008114: D2890052 00010903
	s_and_b32 s82, s82, 0xffffff                               // 00000000811C: 8652FF52 00FFFFFF
	s_cmp_lt_u32 s82, s66                                      // 000000008124: BF0A4252
	s_cselect_b32 s20, s36, s60                                // 000000008128: 85143C24
	v_readlane_b32 s82, v3, 5                                  // 00000000812C: D2890052 00010B03
	s_and_b32 s82, s82, 0xffffff                               // 000000008134: 8652FF52 00FFFFFF
	s_cmp_lt_u32 s82, s66                                      // 00000000813C: BF0A4252
	s_cselect_b32 s21, s36, s60                                // 000000008140: 85153C24
	s_mov_b64 exec, s[20:21]                                   // 000000008144: BEFE0114
	global_atomic_add_f32 v6, v86, s[8:9] offset:8             // 000000008148: DD348008 00085606
	s_mov_b64 exec, s[36:37]                                   // 000000008150: BEFE0124
	v_mov_b32_e32 v6, v51                                      // 000000008154: 7E0C0333
	s_mov_b64 s[60:61], 0                                      // 000000008158: BEBC0180
	v_readlane_b32 s82, v3, 6                                  // 00000000815C: D2890052 00010D03
	s_and_b32 s82, s82, 0xffffff                               // 000000008164: 8652FF52 00FFFFFF
	s_cmp_lt_u32 s82, s66                                      // 00000000816C: BF0A4252
	s_cselect_b32 s20, s36, s60                                // 000000008170: 85143C24
	v_readlane_b32 s82, v3, 7                                  // 000000008174: D2890052 00010F03
	s_and_b32 s82, s82, 0xffffff                               // 00000000817C: 8652FF52 00FFFFFF
	s_cmp_lt_u32 s82, s66                                      // 000000008184: BF0A4252
	s_cselect_b32 s21, s36, s60                                // 000000008188: 85153C24
	s_mov_b64 exec, s[20:21]                                   // 00000000818C: BEFE0114
	global_atomic_add_f32 v6, v87, s[8:9] offset:8             // 000000008190: DD348008 00085706
	s_mov_b64 exec, s[36:37]                                   // 000000008198: BEFE0124
	v_mov_b32_e32 v6, v52                                      // 00000000819C: 7E0C0334
	s_mov_b64 s[60:61], 0                                      // 0000000081A0: BEBC0180
	v_readlane_b32 s82, v3, 8                                  // 0000000081A4: D2890052 00011103
	s_and_b32 s82, s82, 0xffffff                               // 0000000081AC: 8652FF52 00FFFFFF
	s_cmp_lt_u32 s82, s66                                      // 0000000081B4: BF0A4252
	s_cselect_b32 s20, s36, s60                                // 0000000081B8: 85143C24
	v_readlane_b32 s82, v3, 9                                  // 0000000081BC: D2890052 00011303
	s_and_b32 s82, s82, 0xffffff                               // 0000000081C4: 8652FF52 00FFFFFF
	s_cmp_lt_u32 s82, s66                                      // 0000000081CC: BF0A4252
	s_cselect_b32 s21, s36, s60                                // 0000000081D0: 85153C24
	s_mov_b64 exec, s[20:21]                                   // 0000000081D4: BEFE0114
	global_atomic_add_f32 v6, v90, s[8:9] offset:8             // 0000000081D8: DD348008 00085A06
	s_mov_b64 exec, s[36:37]                                   // 0000000081E0: BEFE0124
	v_mov_b32_e32 v6, v53                                      // 0000000081E4: 7E0C0335
	s_mov_b64 s[60:61], 0                                      // 0000000081E8: BEBC0180
	v_readlane_b32 s82, v3, 10                                 // 0000000081EC: D2890052 00011503
	s_and_b32 s82, s82, 0xffffff                               // 0000000081F4: 8652FF52 00FFFFFF
	s_cmp_lt_u32 s82, s66                                      // 0000000081FC: BF0A4252
	s_cselect_b32 s20, s36, s60                                // 000000008200: 85143C24
	v_readlane_b32 s82, v3, 11                                 // 000000008204: D2890052 00011703
	s_and_b32 s82, s82, 0xffffff                               // 00000000820C: 8652FF52 00FFFFFF
	s_cmp_lt_u32 s82, s66                                      // 000000008214: BF0A4252
	s_cselect_b32 s21, s36, s60                                // 000000008218: 85153C24
	s_mov_b64 exec, s[20:21]                                   // 00000000821C: BEFE0114
	global_atomic_add_f32 v6, v91, s[8:9] offset:8             // 000000008220: DD348008 00085B06
	s_mov_b64 exec, s[36:37]                                   // 000000008228: BEFE0124
	v_mov_b32_e32 v6, v54                                      // 00000000822C: 7E0C0336
	s_mov_b64 s[60:61], 0                                      // 000000008230: BEBC0180
	v_readlane_b32 s82, v3, 12                                 // 000000008234: D2890052 00011903
	s_and_b32 s82, s82, 0xffffff                               // 00000000823C: 8652FF52 00FFFFFF
	s_cmp_lt_u32 s82, s66                                      // 000000008244: BF0A4252
	s_cselect_b32 s20, s36, s60                                // 000000008248: 85143C24
	v_readlane_b32 s82, v3, 13                                 // 00000000824C: D2890052 00011B03
	s_and_b32 s82, s82, 0xffffff                               // 000000008254: 8652FF52 00FFFFFF
	s_cmp_lt_u32 s82, s66                                      // 00000000825C: BF0A4252
	s_cselect_b32 s21, s36, s60                                // 000000008260: 85153C24
	s_mov_b64 exec, s[20:21]                                   // 000000008264: BEFE0114
	global_atomic_add_f32 v6, v94, s[8:9] offset:8             // 000000008268: DD348008 00085E06
	s_mov_b64 exec, s[36:37]                                   // 000000008270: BEFE0124
	v_mov_b32_e32 v6, v55                                      // 000000008274: 7E0C0337
	s_mov_b64 s[60:61], 0                                      // 000000008278: BEBC0180
	v_readlane_b32 s82, v3, 14                                 // 00000000827C: D2890052 00011D03
	s_and_b32 s82, s82, 0xffffff                               // 000000008284: 8652FF52 00FFFFFF
	s_cmp_lt_u32 s82, s66                                      // 00000000828C: BF0A4252
	s_cselect_b32 s20, s36, s60                                // 000000008290: 85143C24
	v_readlane_b32 s82, v3, 15                                 // 000000008294: D2890052 00011F03
	s_and_b32 s82, s82, 0xffffff                               // 00000000829C: 8652FF52 00FFFFFF
	s_cmp_lt_u32 s82, s66                                      // 0000000082A4: BF0A4252
	s_cselect_b32 s21, s36, s60                                // 0000000082A8: 85153C24
	s_mov_b64 exec, s[20:21]                                   // 0000000082AC: BEFE0114
	global_atomic_add_f32 v6, v95, s[8:9] offset:8             // 0000000082B0: DD348008 00085F06
	s_mov_b64 exec, s[36:37]                                   // 0000000082B8: BEFE0124
	v_mov_b32_e32 v6, v56                                      // 0000000082BC: 7E0C0338
	s_mov_b64 s[60:61], 0                                      // 0000000082C0: BEBC0180
	v_readlane_b32 s82, v3, 16                                 // 0000000082C4: D2890052 00012103
	s_and_b32 s82, s82, 0xffffff                               // 0000000082CC: 8652FF52 00FFFFFF
	s_cmp_lt_u32 s82, s66                                      // 0000000082D4: BF0A4252
	s_cselect_b32 s20, s36, s60                                // 0000000082D8: 85143C24
	v_readlane_b32 s82, v3, 17                                 // 0000000082DC: D2890052 00012303
	s_and_b32 s82, s82, 0xffffff                               // 0000000082E4: 8652FF52 00FFFFFF
	s_cmp_lt_u32 s82, s66                                      // 0000000082EC: BF0A4252
	s_cselect_b32 s21, s36, s60                                // 0000000082F0: 85153C24
	s_mov_b64 exec, s[20:21]                                   // 0000000082F4: BEFE0114
	global_atomic_add_f32 v6, v98, s[8:9] offset:8             // 0000000082F8: DD348008 00086206
	s_mov_b64 exec, s[36:37]                                   // 000000008300: BEFE0124
	v_mov_b32_e32 v6, v57                                      // 000000008304: 7E0C0339
	s_mov_b64 s[60:61], 0                                      // 000000008308: BEBC0180
	v_readlane_b32 s82, v3, 18                                 // 00000000830C: D2890052 00012503
	s_and_b32 s82, s82, 0xffffff                               // 000000008314: 8652FF52 00FFFFFF
	s_cmp_lt_u32 s82, s66                                      // 00000000831C: BF0A4252
	s_cselect_b32 s20, s36, s60                                // 000000008320: 85143C24
	v_readlane_b32 s82, v3, 19                                 // 000000008324: D2890052 00012703
	s_and_b32 s82, s82, 0xffffff                               // 00000000832C: 8652FF52 00FFFFFF
	s_cmp_lt_u32 s82, s66                                      // 000000008334: BF0A4252
	s_cselect_b32 s21, s36, s60                                // 000000008338: 85153C24
	s_mov_b64 exec, s[20:21]                                   // 00000000833C: BEFE0114
	global_atomic_add_f32 v6, v99, s[8:9] offset:8             // 000000008340: DD348008 00086306
	s_mov_b64 exec, s[36:37]                                   // 000000008348: BEFE0124
	s_branch label_1657                                        // 00000000834C: BF820000

0000000000008350 <label_1657>:
	s_waitcnt vmcnt(0) expcnt(0) lgkmcnt(0)                    // 000000008350: BF8C0000
	s_endpgm                                                   // 000000008354: BF810000
